;; amdgpu-corpus repo=ROCm/rocFFT kind=compiled arch=gfx906 opt=O3
	.text
	.amdgcn_target "amdgcn-amd-amdhsa--gfx906"
	.amdhsa_code_object_version 6
	.protected	fft_rtc_back_len480_factors_10_8_6_wgs_64_tpt_16_halfLds_sp_op_CI_CI_sbrr_dirReg ; -- Begin function fft_rtc_back_len480_factors_10_8_6_wgs_64_tpt_16_halfLds_sp_op_CI_CI_sbrr_dirReg
	.globl	fft_rtc_back_len480_factors_10_8_6_wgs_64_tpt_16_halfLds_sp_op_CI_CI_sbrr_dirReg
	.p2align	8
	.type	fft_rtc_back_len480_factors_10_8_6_wgs_64_tpt_16_halfLds_sp_op_CI_CI_sbrr_dirReg,@function
fft_rtc_back_len480_factors_10_8_6_wgs_64_tpt_16_halfLds_sp_op_CI_CI_sbrr_dirReg: ; @fft_rtc_back_len480_factors_10_8_6_wgs_64_tpt_16_halfLds_sp_op_CI_CI_sbrr_dirReg
; %bb.0:
	s_load_dwordx4 s[16:19], s[4:5], 0x18
	s_load_dwordx4 s[12:15], s[4:5], 0x0
	;; [unrolled: 1-line block ×3, first 2 shown]
	v_lshrrev_b32_e32 v23, 4, v0
	v_mov_b32_e32 v3, 0
	s_waitcnt lgkmcnt(0)
	s_load_dwordx2 s[22:23], s[16:17], 0x0
	s_load_dwordx2 s[20:21], s[18:19], 0x0
	v_cmp_lt_u64_e64 s[0:1], s[14:15], 2
	v_mov_b32_e32 v1, 0
	v_lshl_or_b32 v5, s6, 2, v23
	v_mov_b32_e32 v6, v3
	s_and_b64 vcc, exec, s[0:1]
	v_mov_b32_e32 v2, 0
	s_cbranch_vccnz .LBB0_8
; %bb.1:
	s_load_dwordx2 s[0:1], s[4:5], 0x10
	s_add_u32 s2, s18, 8
	s_addc_u32 s3, s19, 0
	s_add_u32 s6, s16, 8
	v_mov_b32_e32 v1, 0
	s_addc_u32 s7, s17, 0
	v_mov_b32_e32 v2, 0
	s_waitcnt lgkmcnt(0)
	s_add_u32 s24, s0, 8
	v_mov_b32_e32 v25, v2
	s_addc_u32 s25, s1, 0
	s_mov_b64 s[26:27], 1
	v_mov_b32_e32 v24, v1
.LBB0_2:                                ; =>This Inner Loop Header: Depth=1
	s_load_dwordx2 s[28:29], s[24:25], 0x0
                                        ; implicit-def: $vgpr26_vgpr27
	s_waitcnt lgkmcnt(0)
	v_or_b32_e32 v4, s29, v6
	v_cmp_ne_u64_e32 vcc, 0, v[3:4]
	s_and_saveexec_b64 s[0:1], vcc
	s_xor_b64 s[30:31], exec, s[0:1]
	s_cbranch_execz .LBB0_4
; %bb.3:                                ;   in Loop: Header=BB0_2 Depth=1
	v_cvt_f32_u32_e32 v4, s28
	v_cvt_f32_u32_e32 v7, s29
	s_sub_u32 s0, 0, s28
	s_subb_u32 s1, 0, s29
	v_mac_f32_e32 v4, 0x4f800000, v7
	v_rcp_f32_e32 v4, v4
	v_mul_f32_e32 v4, 0x5f7ffffc, v4
	v_mul_f32_e32 v7, 0x2f800000, v4
	v_trunc_f32_e32 v7, v7
	v_mac_f32_e32 v4, 0xcf800000, v7
	v_cvt_u32_f32_e32 v7, v7
	v_cvt_u32_f32_e32 v4, v4
	v_mul_lo_u32 v8, s0, v7
	v_mul_hi_u32 v9, s0, v4
	v_mul_lo_u32 v11, s1, v4
	v_mul_lo_u32 v10, s0, v4
	v_add_u32_e32 v8, v9, v8
	v_add_u32_e32 v8, v8, v11
	v_mul_hi_u32 v9, v4, v10
	v_mul_lo_u32 v11, v4, v8
	v_mul_hi_u32 v13, v4, v8
	v_mul_hi_u32 v12, v7, v10
	v_mul_lo_u32 v10, v7, v10
	v_mul_hi_u32 v14, v7, v8
	v_add_co_u32_e32 v9, vcc, v9, v11
	v_addc_co_u32_e32 v11, vcc, 0, v13, vcc
	v_mul_lo_u32 v8, v7, v8
	v_add_co_u32_e32 v9, vcc, v9, v10
	v_addc_co_u32_e32 v9, vcc, v11, v12, vcc
	v_addc_co_u32_e32 v10, vcc, 0, v14, vcc
	v_add_co_u32_e32 v8, vcc, v9, v8
	v_addc_co_u32_e32 v9, vcc, 0, v10, vcc
	v_add_co_u32_e32 v4, vcc, v4, v8
	v_addc_co_u32_e32 v7, vcc, v7, v9, vcc
	v_mul_lo_u32 v8, s0, v7
	v_mul_hi_u32 v9, s0, v4
	v_mul_lo_u32 v10, s1, v4
	v_mul_lo_u32 v11, s0, v4
	v_add_u32_e32 v8, v9, v8
	v_add_u32_e32 v8, v8, v10
	v_mul_lo_u32 v12, v4, v8
	v_mul_hi_u32 v13, v4, v11
	v_mul_hi_u32 v14, v4, v8
	;; [unrolled: 1-line block ×3, first 2 shown]
	v_mul_lo_u32 v11, v7, v11
	v_mul_hi_u32 v9, v7, v8
	v_add_co_u32_e32 v12, vcc, v13, v12
	v_addc_co_u32_e32 v13, vcc, 0, v14, vcc
	v_mul_lo_u32 v8, v7, v8
	v_add_co_u32_e32 v11, vcc, v12, v11
	v_addc_co_u32_e32 v10, vcc, v13, v10, vcc
	v_addc_co_u32_e32 v9, vcc, 0, v9, vcc
	v_add_co_u32_e32 v8, vcc, v10, v8
	v_addc_co_u32_e32 v9, vcc, 0, v9, vcc
	v_add_co_u32_e32 v4, vcc, v4, v8
	v_addc_co_u32_e32 v9, vcc, v7, v9, vcc
	v_mad_u64_u32 v[7:8], s[0:1], v5, v9, 0
	v_mul_hi_u32 v10, v5, v4
	v_add_co_u32_e32 v11, vcc, v10, v7
	v_addc_co_u32_e32 v12, vcc, 0, v8, vcc
	v_mad_u64_u32 v[7:8], s[0:1], v6, v4, 0
	v_mad_u64_u32 v[9:10], s[0:1], v6, v9, 0
	v_add_co_u32_e32 v4, vcc, v11, v7
	v_addc_co_u32_e32 v4, vcc, v12, v8, vcc
	v_addc_co_u32_e32 v7, vcc, 0, v10, vcc
	v_add_co_u32_e32 v4, vcc, v4, v9
	v_addc_co_u32_e32 v9, vcc, 0, v7, vcc
	v_mul_lo_u32 v10, s29, v4
	v_mul_lo_u32 v11, s28, v9
	v_mad_u64_u32 v[7:8], s[0:1], s28, v4, 0
	v_add3_u32 v8, v8, v11, v10
	v_sub_u32_e32 v10, v6, v8
	v_mov_b32_e32 v11, s29
	v_sub_co_u32_e32 v7, vcc, v5, v7
	v_subb_co_u32_e64 v10, s[0:1], v10, v11, vcc
	v_subrev_co_u32_e64 v11, s[0:1], s28, v7
	v_subbrev_co_u32_e64 v10, s[0:1], 0, v10, s[0:1]
	v_cmp_le_u32_e64 s[0:1], s29, v10
	v_cndmask_b32_e64 v12, 0, -1, s[0:1]
	v_cmp_le_u32_e64 s[0:1], s28, v11
	v_cndmask_b32_e64 v11, 0, -1, s[0:1]
	v_cmp_eq_u32_e64 s[0:1], s29, v10
	v_cndmask_b32_e64 v10, v12, v11, s[0:1]
	v_add_co_u32_e64 v11, s[0:1], 2, v4
	v_addc_co_u32_e64 v12, s[0:1], 0, v9, s[0:1]
	v_add_co_u32_e64 v13, s[0:1], 1, v4
	v_addc_co_u32_e64 v14, s[0:1], 0, v9, s[0:1]
	v_subb_co_u32_e32 v8, vcc, v6, v8, vcc
	v_cmp_ne_u32_e64 s[0:1], 0, v10
	v_cmp_le_u32_e32 vcc, s29, v8
	v_cndmask_b32_e64 v10, v14, v12, s[0:1]
	v_cndmask_b32_e64 v12, 0, -1, vcc
	v_cmp_le_u32_e32 vcc, s28, v7
	v_cndmask_b32_e64 v7, 0, -1, vcc
	v_cmp_eq_u32_e32 vcc, s29, v8
	v_cndmask_b32_e32 v7, v12, v7, vcc
	v_cmp_ne_u32_e32 vcc, 0, v7
	v_cndmask_b32_e64 v7, v13, v11, s[0:1]
	v_cndmask_b32_e32 v27, v9, v10, vcc
	v_cndmask_b32_e32 v26, v4, v7, vcc
.LBB0_4:                                ;   in Loop: Header=BB0_2 Depth=1
	s_andn2_saveexec_b64 s[0:1], s[30:31]
	s_cbranch_execz .LBB0_6
; %bb.5:                                ;   in Loop: Header=BB0_2 Depth=1
	v_cvt_f32_u32_e32 v4, s28
	s_sub_i32 s30, 0, s28
	v_mov_b32_e32 v27, v3
	v_rcp_iflag_f32_e32 v4, v4
	v_mul_f32_e32 v4, 0x4f7ffffe, v4
	v_cvt_u32_f32_e32 v4, v4
	v_mul_lo_u32 v7, s30, v4
	v_mul_hi_u32 v7, v4, v7
	v_add_u32_e32 v4, v4, v7
	v_mul_hi_u32 v4, v5, v4
	v_mul_lo_u32 v7, v4, s28
	v_add_u32_e32 v8, 1, v4
	v_sub_u32_e32 v7, v5, v7
	v_subrev_u32_e32 v9, s28, v7
	v_cmp_le_u32_e32 vcc, s28, v7
	v_cndmask_b32_e32 v7, v7, v9, vcc
	v_cndmask_b32_e32 v4, v4, v8, vcc
	v_add_u32_e32 v8, 1, v4
	v_cmp_le_u32_e32 vcc, s28, v7
	v_cndmask_b32_e32 v26, v4, v8, vcc
.LBB0_6:                                ;   in Loop: Header=BB0_2 Depth=1
	s_or_b64 exec, exec, s[0:1]
	v_mul_lo_u32 v4, v27, s28
	v_mul_lo_u32 v9, v26, s29
	v_mad_u64_u32 v[7:8], s[0:1], v26, s28, 0
	s_load_dwordx2 s[0:1], s[6:7], 0x0
	s_load_dwordx2 s[28:29], s[2:3], 0x0
	v_add3_u32 v4, v8, v9, v4
	v_sub_co_u32_e32 v5, vcc, v5, v7
	v_subb_co_u32_e32 v4, vcc, v6, v4, vcc
	s_waitcnt lgkmcnt(0)
	v_mul_lo_u32 v6, s0, v4
	v_mul_lo_u32 v7, s1, v5
	v_mad_u64_u32 v[1:2], s[0:1], s0, v5, v[1:2]
	v_mul_lo_u32 v4, s28, v4
	v_mul_lo_u32 v8, s29, v5
	v_mad_u64_u32 v[24:25], s[0:1], s28, v5, v[24:25]
	s_add_u32 s26, s26, 1
	s_addc_u32 s27, s27, 0
	s_add_u32 s2, s2, 8
	v_add3_u32 v25, v8, v25, v4
	s_addc_u32 s3, s3, 0
	v_mov_b32_e32 v4, s14
	s_add_u32 s6, s6, 8
	v_mov_b32_e32 v5, s15
	s_addc_u32 s7, s7, 0
	v_cmp_ge_u64_e32 vcc, s[26:27], v[4:5]
	s_add_u32 s24, s24, 8
	v_add3_u32 v2, v7, v2, v6
	s_addc_u32 s25, s25, 0
	s_cbranch_vccnz .LBB0_9
; %bb.7:                                ;   in Loop: Header=BB0_2 Depth=1
	v_mov_b32_e32 v5, v26
	v_mov_b32_e32 v6, v27
	s_branch .LBB0_2
.LBB0_8:
	v_mov_b32_e32 v25, v2
	v_mov_b32_e32 v27, v6
	;; [unrolled: 1-line block ×4, first 2 shown]
.LBB0_9:
	s_load_dwordx2 s[0:1], s[4:5], 0x28
	s_lshl_b64 s[6:7], s[14:15], 3
	s_add_u32 s2, s18, s6
	s_addc_u32 s3, s19, s7
	v_and_b32_e32 v94, 15, v0
	s_waitcnt lgkmcnt(0)
	v_cmp_gt_u64_e32 vcc, s[0:1], v[26:27]
	v_cmp_le_u64_e64 s[0:1], s[0:1], v[26:27]
                                        ; implicit-def: $vgpr95
                                        ; implicit-def: $vgpr97
                                        ; implicit-def: $vgpr96
	s_and_saveexec_b64 s[4:5], s[0:1]
	s_xor_b64 s[0:1], exec, s[4:5]
; %bb.10:
	v_and_b32_e32 v94, 15, v0
	v_or_b32_e32 v95, 16, v94
	v_or_b32_e32 v97, 32, v94
	;; [unrolled: 1-line block ×3, first 2 shown]
                                        ; implicit-def: $vgpr1_vgpr2
; %bb.11:
	s_or_saveexec_b64 s[4:5], s[0:1]
                                        ; implicit-def: $vgpr47
                                        ; implicit-def: $vgpr53
                                        ; implicit-def: $vgpr67
                                        ; implicit-def: $vgpr61
                                        ; implicit-def: $vgpr69
                                        ; implicit-def: $vgpr63
                                        ; implicit-def: $vgpr71
                                        ; implicit-def: $vgpr73
                                        ; implicit-def: $vgpr65
                                        ; implicit-def: $vgpr12
                                        ; implicit-def: $vgpr31
                                        ; implicit-def: $vgpr43
                                        ; implicit-def: $vgpr41
                                        ; implicit-def: $vgpr45
                                        ; implicit-def: $vgpr55
                                        ; implicit-def: $vgpr49
                                        ; implicit-def: $vgpr59
                                        ; implicit-def: $vgpr51
                                        ; implicit-def: $vgpr8
                                        ; implicit-def: $vgpr5
                                        ; implicit-def: $vgpr18
                                        ; implicit-def: $vgpr22
                                        ; implicit-def: $vgpr10
                                        ; implicit-def: $vgpr33
                                        ; implicit-def: $vgpr14
                                        ; implicit-def: $vgpr39
                                        ; implicit-def: $vgpr20
                                        ; implicit-def: $vgpr16
                                        ; implicit-def: $vgpr57
                                        ; implicit-def: $vgpr75
	s_xor_b64 exec, exec, s[4:5]
	s_cbranch_execz .LBB0_13
; %bb.12:
	s_add_u32 s0, s16, s6
	s_addc_u32 s1, s17, s7
	s_load_dwordx2 s[0:1], s[0:1], 0x0
	v_mad_u64_u32 v[6:7], s[6:7], s22, v94, 0
	v_or_b32_e32 v96, 48, v94
	v_or_b32_e32 v11, 0x90, v94
	s_waitcnt lgkmcnt(0)
	v_mul_lo_u32 v5, s1, v26
	v_mul_lo_u32 v9, s0, v27
	v_mad_u64_u32 v[3:4], s[0:1], s0, v26, 0
	v_mov_b32_e32 v0, v7
	v_mad_u64_u32 v[7:8], s[0:1], s23, v94, v[0:1]
	v_add3_u32 v4, v4, v9, v5
	v_lshlrev_b64 v[3:4], 3, v[3:4]
	v_mov_b32_e32 v0, s9
	v_add_co_u32_e64 v5, s[0:1], s8, v3
	v_addc_co_u32_e64 v8, s[0:1], v0, v4, s[0:1]
	v_lshlrev_b64 v[0:1], 3, v[1:2]
	v_mad_u64_u32 v[2:3], s[0:1], s22, v96, 0
	v_add_co_u32_e64 v4, s[0:1], v5, v0
	v_addc_co_u32_e64 v5, s[0:1], v8, v1, s[0:1]
	v_lshlrev_b64 v[0:1], 3, v[6:7]
	v_mad_u64_u32 v[6:7], s[0:1], s23, v96, v[3:4]
	v_or_b32_e32 v9, 0x60, v94
	v_mad_u64_u32 v[7:8], s[0:1], s22, v9, 0
	v_add_co_u32_e64 v0, s[0:1], v4, v0
	v_mov_b32_e32 v3, v6
	v_mov_b32_e32 v6, v8
	v_addc_co_u32_e64 v1, s[0:1], v5, v1, s[0:1]
	v_mad_u64_u32 v[8:9], s[0:1], s23, v9, v[6:7]
	v_mad_u64_u32 v[9:10], s[0:1], s22, v11, 0
	v_lshlrev_b64 v[2:3], 3, v[2:3]
	v_lshlrev_b64 v[6:7], 3, v[7:8]
	v_add_co_u32_e64 v2, s[0:1], v4, v2
	v_mov_b32_e32 v8, v10
	v_addc_co_u32_e64 v3, s[0:1], v5, v3, s[0:1]
	v_mad_u64_u32 v[10:11], s[0:1], s23, v11, v[8:9]
	v_or_b32_e32 v13, 0xc0, v94
	v_mad_u64_u32 v[11:12], s[0:1], s22, v13, 0
	v_add_co_u32_e64 v6, s[0:1], v4, v6
	v_lshlrev_b64 v[8:9], 3, v[9:10]
	v_mov_b32_e32 v10, v12
	v_addc_co_u32_e64 v7, s[0:1], v5, v7, s[0:1]
	v_mad_u64_u32 v[12:13], s[0:1], s23, v13, v[10:11]
	v_or_b32_e32 v15, 0xf0, v94
	v_mad_u64_u32 v[13:14], s[0:1], s22, v15, 0
	v_add_co_u32_e64 v8, s[0:1], v4, v8
	v_lshlrev_b64 v[10:11], 3, v[11:12]
	v_mov_b32_e32 v12, v14
	v_addc_co_u32_e64 v9, s[0:1], v5, v9, s[0:1]
	v_mad_u64_u32 v[14:15], s[0:1], s23, v15, v[12:13]
	v_or_b32_e32 v19, 0x120, v94
	v_mad_u64_u32 v[15:16], s[0:1], s22, v19, 0
	v_add_co_u32_e64 v17, s[0:1], v4, v10
	v_mov_b32_e32 v12, v16
	v_addc_co_u32_e64 v18, s[0:1], v5, v11, s[0:1]
	v_lshlrev_b64 v[10:11], 3, v[13:14]
	v_mad_u64_u32 v[12:13], s[0:1], s23, v19, v[12:13]
	v_or_b32_e32 v21, 0x150, v94
	v_mad_u64_u32 v[13:14], s[0:1], s22, v21, 0
	v_add_co_u32_e64 v19, s[0:1], v4, v10
	v_mov_b32_e32 v16, v12
	v_mov_b32_e32 v12, v14
	v_addc_co_u32_e64 v20, s[0:1], v5, v11, s[0:1]
	v_lshlrev_b64 v[10:11], 3, v[15:16]
	v_mad_u64_u32 v[14:15], s[0:1], s23, v21, v[12:13]
	v_or_b32_e32 v28, 0x180, v94
	v_mad_u64_u32 v[15:16], s[0:1], s22, v28, 0
	v_add_co_u32_e64 v21, s[0:1], v4, v10
	v_mov_b32_e32 v12, v16
	v_addc_co_u32_e64 v22, s[0:1], v5, v11, s[0:1]
	v_lshlrev_b64 v[10:11], 3, v[13:14]
	v_mad_u64_u32 v[12:13], s[0:1], s23, v28, v[12:13]
	v_or_b32_e32 v30, 0x1b0, v94
	v_mad_u64_u32 v[13:14], s[0:1], s22, v30, 0
	v_add_co_u32_e64 v28, s[0:1], v4, v10
	v_mov_b32_e32 v16, v12
	v_mov_b32_e32 v12, v14
	v_addc_co_u32_e64 v29, s[0:1], v5, v11, s[0:1]
	v_lshlrev_b64 v[10:11], 3, v[15:16]
	;; [unrolled: 15-line block ×12, first 2 shown]
	v_mad_u64_u32 v[14:15], s[0:1], s23, v30, v[12:13]
	v_add_co_u32_e64 v106, s[0:1], v4, v10
	v_addc_co_u32_e64 v107, s[0:1], v5, v11, s[0:1]
	v_lshlrev_b64 v[10:11], 3, v[13:14]
	v_add_co_u32_e64 v108, s[0:1], v4, v10
	v_addc_co_u32_e64 v109, s[0:1], v5, v11, s[0:1]
	global_load_dwordx2 v[46:47], v[0:1], off
	global_load_dwordx2 v[52:53], v[2:3], off
	;; [unrolled: 1-line block ×15, first 2 shown]
                                        ; kill: killed $vgpr48 killed $vgpr49
                                        ; kill: killed $vgpr32 killed $vgpr33
                                        ; kill: killed $vgpr8 killed $vgpr9
                                        ; kill: killed $vgpr54 killed $vgpr55
                                        ; kill: killed $vgpr19 killed $vgpr20
                                        ; kill: killed $vgpr38 killed $vgpr39
                                        ; kill: killed $vgpr28 killed $vgpr29
                                        ; kill: killed $vgpr6 killed $vgpr7
                                        ; kill: killed $vgpr50 killed $vgpr51
                                        ; kill: killed $vgpr34 killed $vgpr35
                                        ; kill: killed $vgpr17 killed $vgpr18
                                        ; kill: killed $vgpr0 killed $vgpr1
                                        ; kill: killed $vgpr36 killed $vgpr37
                                        ; kill: killed $vgpr21 killed $vgpr22
                                        ; kill: killed $vgpr2 killed $vgpr3
	global_load_dwordx2 v[56:57], v[76:77], off
	s_nop 0
	global_load_dwordx2 v[54:55], v[78:79], off
	global_load_dwordx2 v[48:49], v[80:81], off
	;; [unrolled: 1-line block ×14, first 2 shown]
.LBB0_13:
	s_or_b64 exec, exec, s[4:5]
	s_waitcnt vmcnt(23)
	v_add_f32_e32 v1, v68, v70
	v_fma_f32 v28, -0.5, v1, v46
	v_sub_f32_e32 v1, v66, v68
	s_waitcnt vmcnt(21)
	v_sub_f32_e32 v2, v72, v70
	v_add_f32_e32 v35, v1, v2
	v_add_f32_e32 v1, v66, v72
	;; [unrolled: 1-line block ×3, first 2 shown]
	v_fmac_f32_e32 v46, -0.5, v1
	v_sub_f32_e32 v34, v69, v71
	v_mov_b32_e32 v36, v46
	v_sub_f32_e32 v29, v67, v73
	v_fmac_f32_e32 v36, 0x3f737871, v34
	v_sub_f32_e32 v1, v68, v66
	v_sub_f32_e32 v2, v70, v72
	v_fmac_f32_e32 v46, 0xbf737871, v34
	v_fmac_f32_e32 v36, 0xbf167918, v29
	v_add_f32_e32 v1, v1, v2
	v_fmac_f32_e32 v46, 0x3f167918, v29
	v_fmac_f32_e32 v36, 0x3e9e377a, v1
	;; [unrolled: 1-line block ×3, first 2 shown]
	v_sub_f32_e32 v1, v60, v62
	s_waitcnt vmcnt(20)
	v_sub_f32_e32 v2, v64, v74
	v_add_f32_e32 v37, v1, v2
	v_add_f32_e32 v1, v62, v74
	;; [unrolled: 1-line block ×3, first 2 shown]
	v_fma_f32 v6, -0.5, v1, v52
	v_add_f32_e32 v1, v52, v60
	v_fmac_f32_e32 v52, -0.5, v2
	v_sub_f32_e32 v76, v63, v75
	v_mov_b32_e32 v102, v52
	v_sub_f32_e32 v2, v62, v60
	v_sub_f32_e32 v3, v74, v64
	v_fmac_f32_e32 v102, 0x3f737871, v76
	v_sub_f32_e32 v77, v61, v65
	v_fmac_f32_e32 v52, 0xbf737871, v76
	v_add_f32_e32 v0, v0, v68
	v_add_f32_e32 v2, v2, v3
	v_fmac_f32_e32 v102, 0xbf167918, v77
	v_fmac_f32_e32 v52, 0x3f167918, v77
	v_add_f32_e32 v0, v0, v70
	v_fmac_f32_e32 v102, 0x3e9e377a, v2
	v_fmac_f32_e32 v52, 0x3e9e377a, v2
	v_sub_f32_e32 v2, v61, v63
	v_sub_f32_e32 v3, v65, v75
	v_add_f32_e32 v81, v0, v72
	v_add_f32_e32 v0, v1, v62
	;; [unrolled: 1-line block ×3, first 2 shown]
	v_sub_f32_e32 v2, v63, v61
	v_sub_f32_e32 v3, v75, v65
	v_add_f32_e32 v0, v0, v74
	v_add_f32_e32 v2, v2, v3
	;; [unrolled: 1-line block ×3, first 2 shown]
	v_sub_f32_e32 v79, v62, v74
	v_add_f32_e32 v62, v64, v0
	v_add_f32_e32 v0, v63, v75
	v_fma_f32 v103, -0.5, v3, v53
	v_mul_u32_u24_e32 v80, 0x1e0, v23
	v_fma_f32 v23, -0.5, v0, v53
	v_mov_b32_e32 v104, v103
	v_sub_f32_e32 v60, v60, v64
	v_mov_b32_e32 v106, v23
	v_fmac_f32_e32 v104, 0xbf737871, v79
	v_fmac_f32_e32 v103, 0x3f737871, v79
	v_mov_b32_e32 v105, v6
	v_fmac_f32_e32 v106, 0x3f737871, v60
	v_fmac_f32_e32 v104, 0x3f167918, v60
	;; [unrolled: 1-line block ×3, first 2 shown]
	v_mov_b32_e32 v82, v28
	v_fmac_f32_e32 v105, 0xbf737871, v77
	v_fmac_f32_e32 v106, 0x3f167918, v79
	;; [unrolled: 1-line block ×12, first 2 shown]
	v_mul_f32_e32 v64, 0xbf167918, v106
	v_mul_f32_e32 v83, 0xbf737871, v104
	;; [unrolled: 1-line block ×3, first 2 shown]
	v_lshlrev_b32_e32 v74, 2, v80
	v_fmac_f32_e32 v28, 0x3f737871, v29
	v_fmac_f32_e32 v6, 0x3f167918, v76
	;; [unrolled: 1-line block ×7, first 2 shown]
	v_mul_u32_u24_e32 v80, 10, v94
	v_add_u32_e32 v85, 0, v74
	v_fmac_f32_e32 v28, 0x3f167918, v34
	v_fmac_f32_e32 v6, 0x3e9e377a, v37
	v_mul_f32_e32 v29, 0xbf167918, v23
	v_add_f32_e32 v0, v81, v62
	v_add_f32_e32 v1, v82, v64
	v_add_f32_e32 v2, v36, v83
	v_add_f32_e32 v3, v46, v84
	v_lshl_add_u32 v108, v80, 2, v85
	v_fmac_f32_e32 v28, 0x3e9e377a, v35
	v_fmac_f32_e32 v29, 0xbf4f1bbd, v6
	ds_write2_b64 v108, v[0:1], v[2:3] offset1:1
	v_sub_f32_e32 v0, v82, v64
	v_sub_f32_e32 v1, v36, v83
	;; [unrolled: 1-line block ×3, first 2 shown]
	v_add_f32_e32 v2, v28, v29
	ds_write2_b64 v108, v[2:3], v[0:1] offset0:2 offset1:3
	v_sub_f32_e32 v1, v28, v29
	v_sub_f32_e32 v0, v46, v84
	ds_write_b64 v108, v[0:1] offset:32
	s_waitcnt vmcnt(15)
	v_sub_f32_e32 v0, v42, v44
	s_waitcnt vmcnt(11)
	v_sub_f32_e32 v1, v58, v54
	v_add_f32_e32 v28, v0, v1
	v_add_f32_e32 v0, v44, v54
	;; [unrolled: 1-line block ×3, first 2 shown]
	v_fma_f32 v29, -0.5, v0, v11
	v_add_f32_e32 v0, v11, v42
	v_fmac_f32_e32 v11, -0.5, v1
	v_sub_f32_e32 v34, v45, v55
	v_mov_b32_e32 v35, v11
	v_sub_f32_e32 v1, v44, v42
	v_sub_f32_e32 v2, v54, v58
	v_fmac_f32_e32 v35, 0x3f737871, v34
	v_sub_f32_e32 v36, v43, v59
	v_fmac_f32_e32 v11, 0xbf737871, v34
	v_add_f32_e32 v1, v1, v2
	v_fmac_f32_e32 v35, 0xbf167918, v36
	v_fmac_f32_e32 v11, 0x3f167918, v36
	;; [unrolled: 1-line block ×4, first 2 shown]
	v_sub_f32_e32 v1, v40, v56
	s_waitcnt vmcnt(10)
	v_sub_f32_e32 v2, v50, v48
	v_add_f32_e32 v37, v2, v1
	v_add_f32_e32 v1, v48, v56
	;; [unrolled: 1-line block ×3, first 2 shown]
	v_fma_f32 v46, -0.5, v1, v30
	v_add_f32_e32 v1, v30, v40
	v_fmac_f32_e32 v30, -0.5, v2
	v_sub_f32_e32 v60, v57, v49
	v_mov_b32_e32 v109, v30
	v_sub_f32_e32 v2, v56, v40
	v_sub_f32_e32 v3, v48, v50
	v_fmac_f32_e32 v109, 0x3f737871, v60
	v_sub_f32_e32 v62, v41, v51
	v_fmac_f32_e32 v30, 0xbf737871, v60
	v_add_f32_e32 v0, v0, v44
	v_add_f32_e32 v2, v3, v2
	v_fmac_f32_e32 v109, 0xbf167918, v62
	v_fmac_f32_e32 v30, 0x3f167918, v62
	v_add_f32_e32 v0, v0, v54
	v_fmac_f32_e32 v109, 0x3e9e377a, v2
	v_fmac_f32_e32 v30, 0x3e9e377a, v2
	v_sub_f32_e32 v2, v41, v57
	v_sub_f32_e32 v3, v51, v49
	v_add_f32_e32 v78, v0, v58
	v_add_f32_e32 v0, v1, v56
	v_add_f32_e32 v64, v3, v2
	v_sub_f32_e32 v2, v57, v41
	v_sub_f32_e32 v3, v49, v51
	v_add_f32_e32 v0, v48, v0
	v_add_f32_e32 v2, v3, v2
	v_add_f32_e32 v3, v41, v51
	v_sub_f32_e32 v77, v40, v50
	v_add_f32_e32 v50, v50, v0
	v_add_f32_e32 v0, v49, v57
	v_fma_f32 v110, -0.5, v3, v31
	v_sub_f32_e32 v76, v56, v48
	v_fma_f32 v48, -0.5, v0, v31
	v_mov_b32_e32 v111, v110
	v_mov_b32_e32 v113, v48
	v_fmac_f32_e32 v111, 0xbf737871, v76
	v_fmac_f32_e32 v110, 0x3f737871, v76
	v_mov_b32_e32 v112, v46
	v_fmac_f32_e32 v113, 0x3f737871, v77
	v_fmac_f32_e32 v111, 0x3f167918, v77
	;; [unrolled: 1-line block ×3, first 2 shown]
	v_mov_b32_e32 v79, v29
	v_fmac_f32_e32 v112, 0xbf737871, v62
	v_fmac_f32_e32 v113, 0x3f167918, v76
	;; [unrolled: 1-line block ×13, first 2 shown]
	v_mul_f32_e32 v56, 0xbf167918, v113
	v_mul_f32_e32 v80, 0xbf737871, v111
	;; [unrolled: 1-line block ×3, first 2 shown]
	v_fmac_f32_e32 v29, 0x3f167918, v34
	v_fmac_f32_e32 v46, 0x3f167918, v60
	;; [unrolled: 1-line block ×7, first 2 shown]
	v_mul_i32_i24_e32 v40, 10, v95
	v_fmac_f32_e32 v29, 0x3e9e377a, v28
	v_fmac_f32_e32 v46, 0x3e9e377a, v37
	v_mul_f32_e32 v28, 0xbf167918, v48
	v_add_f32_e32 v0, v78, v50
	v_add_f32_e32 v1, v79, v56
	;; [unrolled: 1-line block ×4, first 2 shown]
	v_lshl_add_u32 v40, v40, 2, v85
	v_fmac_f32_e32 v28, 0xbf4f1bbd, v46
	ds_write2_b64 v40, v[0:1], v[2:3] offset1:1
	v_sub_f32_e32 v0, v79, v56
	v_sub_f32_e32 v1, v35, v80
	;; [unrolled: 1-line block ×3, first 2 shown]
	v_add_f32_e32 v2, v29, v28
	ds_write2_b64 v40, v[2:3], v[0:1] offset0:2 offset1:3
	v_sub_f32_e32 v1, v29, v28
	v_sub_f32_e32 v0, v11, v81
	ds_write_b64 v40, v[0:1] offset:32
	s_waitcnt vmcnt(5)
	v_sub_f32_e32 v0, v17, v21
	s_waitcnt vmcnt(1)
	v_sub_f32_e32 v1, v38, v32
	v_add_f32_e32 v28, v0, v1
	v_add_f32_e32 v0, v21, v32
	;; [unrolled: 1-line block ×3, first 2 shown]
	v_fma_f32 v29, -0.5, v0, v7
	v_add_f32_e32 v0, v7, v17
	v_fmac_f32_e32 v7, -0.5, v1
	v_sub_f32_e32 v34, v22, v33
	v_mov_b32_e32 v35, v7
	v_sub_f32_e32 v1, v21, v17
	v_sub_f32_e32 v2, v32, v38
	v_fmac_f32_e32 v35, 0x3f737871, v34
	v_sub_f32_e32 v36, v18, v39
	v_fmac_f32_e32 v7, 0xbf737871, v34
	v_add_f32_e32 v1, v1, v2
	v_fmac_f32_e32 v35, 0xbf167918, v36
	v_fmac_f32_e32 v7, 0x3f167918, v36
	v_fmac_f32_e32 v35, 0x3e9e377a, v1
	v_fmac_f32_e32 v7, 0x3e9e377a, v1
	v_sub_f32_e32 v1, v15, v9
	s_waitcnt vmcnt(0)
	v_sub_f32_e32 v2, v19, v13
	v_add_f32_e32 v37, v2, v1
	v_add_f32_e32 v1, v9, v13
	;; [unrolled: 1-line block ×3, first 2 shown]
	v_fma_f32 v11, -0.5, v1, v4
	v_add_f32_e32 v1, v4, v15
	v_fmac_f32_e32 v4, -0.5, v2
	v_sub_f32_e32 v50, v10, v14
	v_mov_b32_e32 v114, v4
	v_sub_f32_e32 v2, v9, v15
	v_sub_f32_e32 v3, v13, v19
	v_fmac_f32_e32 v114, 0x3f737871, v50
	v_sub_f32_e32 v56, v16, v20
	v_fmac_f32_e32 v4, 0xbf737871, v50
	v_add_f32_e32 v0, v0, v21
	v_add_f32_e32 v2, v3, v2
	v_fmac_f32_e32 v114, 0xbf167918, v56
	v_fmac_f32_e32 v4, 0x3f167918, v56
	v_add_f32_e32 v0, v0, v32
	v_fmac_f32_e32 v114, 0x3e9e377a, v2
	v_fmac_f32_e32 v4, 0x3e9e377a, v2
	v_sub_f32_e32 v2, v16, v10
	v_sub_f32_e32 v3, v20, v14
	v_add_f32_e32 v76, v0, v38
	v_add_f32_e32 v0, v9, v1
	;; [unrolled: 1-line block ×3, first 2 shown]
	v_sub_f32_e32 v2, v10, v16
	v_sub_f32_e32 v3, v14, v20
	v_add_f32_e32 v0, v13, v0
	v_add_f32_e32 v2, v3, v2
	;; [unrolled: 1-line block ×3, first 2 shown]
	v_sub_f32_e32 v64, v15, v19
	v_add_f32_e32 v19, v19, v0
	v_add_f32_e32 v0, v10, v14
	v_fma_f32 v115, -0.5, v3, v5
	v_sub_f32_e32 v62, v9, v13
	v_fma_f32 v13, -0.5, v0, v5
	v_mov_b32_e32 v116, v115
	v_mov_b32_e32 v117, v13
	v_fmac_f32_e32 v116, 0xbf737871, v62
	v_fmac_f32_e32 v115, 0x3f737871, v62
	v_mov_b32_e32 v15, v11
	v_fmac_f32_e32 v117, 0x3f737871, v64
	v_fmac_f32_e32 v116, 0x3f167918, v64
	;; [unrolled: 1-line block ×3, first 2 shown]
	v_mov_b32_e32 v77, v29
	v_fmac_f32_e32 v15, 0xbf737871, v56
	v_fmac_f32_e32 v117, 0x3f167918, v62
	;; [unrolled: 1-line block ×9, first 2 shown]
	v_mul_f32_e32 v78, 0xbf167918, v117
	v_mul_f32_e32 v79, 0xbf737871, v116
	;; [unrolled: 1-line block ×3, first 2 shown]
	v_fmac_f32_e32 v13, 0xbf737871, v64
	v_fmac_f32_e32 v77, 0x3e9e377a, v28
	;; [unrolled: 1-line block ×5, first 2 shown]
	v_mul_i32_i24_e32 v9, 10, v97
	v_fmac_f32_e32 v11, 0x3f737871, v56
	v_fmac_f32_e32 v13, 0xbf167918, v62
	v_add_f32_e32 v0, v76, v19
	v_add_f32_e32 v1, v77, v78
	;; [unrolled: 1-line block ×4, first 2 shown]
	v_lshl_add_u32 v9, v9, 2, v85
	v_fmac_f32_e32 v29, 0x3f737871, v36
	v_fmac_f32_e32 v11, 0x3f167918, v50
	v_fmac_f32_e32 v13, 0x3e9e377a, v60
	ds_write2_b64 v9, v[0:1], v[2:3] offset1:1
	v_sub_f32_e32 v1, v76, v19
	v_fmac_f32_e32 v29, 0x3f167918, v34
	v_fmac_f32_e32 v11, 0x3e9e377a, v37
	v_mul_f32_e32 v19, 0xbf167918, v13
	v_fmac_f32_e32 v29, 0x3e9e377a, v28
	v_fmac_f32_e32 v19, 0xbf4f1bbd, v11
	v_sub_f32_e32 v28, v7, v80
	v_lshlrev_b32_e32 v7, 2, v94
	v_sub_f32_e32 v2, v77, v78
	v_sub_f32_e32 v3, v35, v79
	v_add_f32_e32 v0, v29, v19
	v_add_u32_e32 v60, v85, v7
	v_add3_u32 v62, 0, v7, v74
	v_lshl_add_u32 v64, v97, 2, v85
	v_sub_f32_e32 v29, v29, v19
	s_load_dwordx2 s[4:5], s[2:3], 0x0
	ds_write2_b64 v9, v[0:1], v[2:3] offset0:2 offset1:3
	ds_write_b64 v9, v[28:29] offset:32
	s_waitcnt lgkmcnt(0)
	; wave barrier
	s_waitcnt lgkmcnt(0)
	v_lshl_add_u32 v56, v95, 2, v85
	ds_read_b32 v100, v60
	v_add_u32_e32 v19, 0x400, v62
	ds_read_b32 v98, v64
	ds_read_b32 v99, v56
	ds_read_b32 v107, v62 offset:1808
	ds_read2_b32 v[92:93], v62 offset0:60 offset1:76
	ds_read2_b32 v[82:83], v62 offset0:92 offset1:120
	;; [unrolled: 1-line block ×8, first 2 shown]
	ds_read2_b32 v[36:37], v19 offset1:16
	ds_read2_b32 v[80:81], v19 offset0:120 offset1:136
	s_mov_b32 s7, 0x3f737871
	s_mov_b32 s6, 0x3f167918
	v_cmp_gt_u32_e64 s[0:1], 12, v94
	v_lshlrev_b32_e32 v50, 2, v96
                                        ; implicit-def: $vgpr101
                                        ; implicit-def: $vgpr77
	s_and_saveexec_b64 s[2:3], s[0:1]
	s_cbranch_execz .LBB0_15
; %bb.14:
	v_add3_u32 v0, 0, v50, v74
	ds_read2_b32 v[1:2], v62 offset0:108 offset1:168
	v_add_u32_e32 v3, 0x200, v62
	ds_read2_b32 v[28:29], v3 offset0:100 offset1:160
	ds_read2_b32 v[76:77], v19 offset0:92 offset1:152
	ds_read_b32 v0, v0
	ds_read_b32 v101, v62 offset:1872
	s_waitcnt lgkmcnt(3)
	v_mov_b32_e32 v3, v28
	v_mov_b32_e32 v28, v29
	s_waitcnt lgkmcnt(2)
	v_mov_b32_e32 v29, v76
.LBB0_15:
	s_or_b64 exec, exec, s[2:3]
	v_add_f32_e32 v76, v69, v71
	v_fma_f32 v76, -0.5, v76, v47
	v_sub_f32_e32 v66, v66, v72
	v_mov_b32_e32 v72, v76
	v_fmac_f32_e32 v72, 0x3f737871, v66
	v_sub_f32_e32 v68, v68, v70
	v_sub_f32_e32 v70, v67, v69
	;; [unrolled: 1-line block ×3, first 2 shown]
	v_fmac_f32_e32 v76, 0xbf737871, v66
	v_add_f32_e32 v7, v47, v67
	v_fmac_f32_e32 v72, 0x3f167918, v68
	v_add_f32_e32 v70, v70, v118
	;; [unrolled: 2-line block ×3, first 2 shown]
	v_add_f32_e32 v7, v7, v69
	v_fmac_f32_e32 v72, 0x3e9e377a, v70
	v_fmac_f32_e32 v76, 0x3e9e377a, v70
	v_add_f32_e32 v70, v67, v73
	v_add_f32_e32 v53, v53, v63
	;; [unrolled: 1-line block ×3, first 2 shown]
	v_fmac_f32_e32 v47, -0.5, v70
	v_add_f32_e32 v53, v53, v75
	v_add_f32_e32 v7, v7, v73
	v_mov_b32_e32 v70, v47
	v_sub_f32_e32 v67, v69, v67
	v_sub_f32_e32 v69, v71, v73
	v_fmac_f32_e32 v47, 0x3f737871, v68
	v_add_f32_e32 v53, v65, v53
	v_fmac_f32_e32 v70, 0xbf737871, v68
	v_add_f32_e32 v67, v67, v69
	;; [unrolled: 2-line block ×3, first 2 shown]
	v_mul_f32_e32 v68, 0x3e9e377a, v103
	v_sub_f32_e32 v53, v7, v53
	v_add_f32_e32 v7, v45, v55
	v_fmac_f32_e32 v47, 0x3e9e377a, v67
	v_fma_f32 v71, v52, s7, -v68
	v_mul_f32_e32 v23, 0x3f4f1bbd, v23
	v_fma_f32 v7, -0.5, v7, v12
	v_add_f32_e32 v68, v47, v71
	v_fma_f32 v6, v6, s6, -v23
	v_sub_f32_e32 v71, v47, v71
	v_sub_f32_e32 v23, v42, v58
	v_mov_b32_e32 v47, v7
	v_fmac_f32_e32 v47, 0x3f737871, v23
	v_sub_f32_e32 v42, v44, v54
	v_sub_f32_e32 v44, v43, v45
	;; [unrolled: 1-line block ×3, first 2 shown]
	v_fmac_f32_e32 v7, 0xbf737871, v23
	v_mul_f32_e32 v61, 0x3f167918, v105
	v_fmac_f32_e32 v47, 0x3f167918, v42
	v_add_f32_e32 v44, v44, v54
	v_fmac_f32_e32 v7, 0xbf167918, v42
	v_fmac_f32_e32 v61, 0x3f4f1bbd, v106
	;; [unrolled: 1-line block ×4, first 2 shown]
	v_add_f32_e32 v44, v43, v59
	v_fmac_f32_e32 v70, 0x3f167918, v66
	v_add_f32_e32 v66, v72, v61
	v_add_f32_e32 v52, v76, v6
	v_sub_f32_e32 v69, v72, v61
	v_sub_f32_e32 v72, v76, v6
	v_add_f32_e32 v6, v12, v43
	v_fmac_f32_e32 v12, -0.5, v44
	v_mov_b32_e32 v54, v12
	v_fmac_f32_e32 v54, 0xbf737871, v42
	v_fmac_f32_e32 v12, 0x3f737871, v42
	;; [unrolled: 1-line block ×4, first 2 shown]
	v_add_f32_e32 v23, v31, v41
	v_add_f32_e32 v23, v23, v57
	;; [unrolled: 1-line block ×3, first 2 shown]
	v_sub_f32_e32 v43, v45, v43
	v_sub_f32_e32 v44, v55, v59
	v_add_f32_e32 v23, v49, v23
	v_mul_f32_e32 v45, 0x3f4f1bbd, v48
	v_add_f32_e32 v43, v43, v44
	v_add_f32_e32 v23, v51, v23
	v_mul_f32_e32 v49, 0x3e9e377a, v111
	v_mul_f32_e32 v44, 0x3e9e377a, v110
	v_fma_f32 v51, v46, s6, -v45
	v_add_f32_e32 v6, v6, v55
	v_fmac_f32_e32 v54, 0x3e9e377a, v43
	v_fmac_f32_e32 v12, 0x3e9e377a, v43
	;; [unrolled: 1-line block ×3, first 2 shown]
	v_fma_f32 v30, v30, s7, -v44
	v_add_f32_e32 v45, v7, v51
	v_sub_f32_e32 v55, v7, v51
	v_add_f32_e32 v7, v22, v33
	v_add_f32_e32 v6, v6, v59
	;; [unrolled: 1-line block ×4, first 2 shown]
	v_sub_f32_e32 v48, v54, v49
	v_sub_f32_e32 v54, v12, v30
	v_fma_f32 v12, -0.5, v7, v8
	v_add_f32_e32 v41, v6, v23
	v_sub_f32_e32 v46, v6, v23
	v_sub_f32_e32 v7, v17, v38
	v_mov_b32_e32 v23, v12
	v_fmac_f32_e32 v23, 0x3f737871, v7
	v_sub_f32_e32 v17, v21, v32
	v_sub_f32_e32 v21, v18, v22
	;; [unrolled: 1-line block ×3, first 2 shown]
	v_fmac_f32_e32 v12, 0xbf737871, v7
	v_fmac_f32_e32 v23, 0x3f167918, v17
	v_add_f32_e32 v21, v21, v30
	v_fmac_f32_e32 v12, 0xbf167918, v17
	v_fmac_f32_e32 v23, 0x3e9e377a, v21
	;; [unrolled: 1-line block ×3, first 2 shown]
	v_add_f32_e32 v21, v18, v39
	v_add_f32_e32 v6, v8, v18
	v_fmac_f32_e32 v8, -0.5, v21
	v_mov_b32_e32 v21, v8
	v_add_f32_e32 v6, v6, v22
	v_fmac_f32_e32 v21, 0xbf737871, v17
	v_sub_f32_e32 v18, v22, v18
	v_sub_f32_e32 v22, v33, v39
	v_fmac_f32_e32 v8, 0x3f737871, v17
	v_add_f32_e32 v5, v5, v16
	v_mul_f32_e32 v63, 0x3e9e377a, v104
	v_mul_f32_e32 v31, 0x3f167918, v112
	v_fmac_f32_e32 v21, 0x3f167918, v7
	v_add_f32_e32 v18, v18, v22
	v_fmac_f32_e32 v8, 0xbf167918, v7
	v_add_f32_e32 v5, v10, v5
	v_mul_f32_e32 v7, 0x3f4f1bbd, v117
	v_mul_f32_e32 v10, 0x3f737871, v114
	;; [unrolled: 1-line block ×3, first 2 shown]
	v_fmac_f32_e32 v70, 0x3e9e377a, v67
	v_fmac_f32_e32 v63, 0x3f737871, v102
	;; [unrolled: 1-line block ×3, first 2 shown]
	v_add_f32_e32 v6, v6, v33
	v_fmac_f32_e32 v21, 0x3e9e377a, v18
	v_fmac_f32_e32 v8, 0x3e9e377a, v18
	v_add_f32_e32 v5, v14, v5
	v_fmac_f32_e32 v7, 0x3f167918, v15
	v_fmac_f32_e32 v10, 0x3e9e377a, v116
	v_fma_f32 v18, v4, s7, -v17
	v_mul_f32_e32 v4, 0x3f4f1bbd, v13
	v_add_f32_e32 v67, v70, v63
	v_sub_f32_e32 v70, v70, v63
	v_add_f32_e32 v42, v47, v31
	v_sub_f32_e32 v47, v47, v31
	v_add_f32_e32 v6, v6, v39
	v_add_f32_e32 v5, v20, v5
	;; [unrolled: 1-line block ×5, first 2 shown]
	v_fma_f32 v11, v11, s6, -v4
	v_add_f32_e32 v14, v6, v5
	v_add_f32_e32 v4, v12, v11
	v_sub_f32_e32 v5, v6, v5
	v_sub_f32_e32 v6, v23, v7
	;; [unrolled: 1-line block ×5, first 2 shown]
	s_waitcnt lgkmcnt(0)
	; wave barrier
	s_waitcnt lgkmcnt(0)
	ds_write2_b64 v108, v[65:66], v[67:68] offset1:1
	ds_write2_b64 v108, v[52:53], v[69:70] offset0:2 offset1:3
	ds_write_b64 v108, v[71:72] offset:32
	ds_write2_b64 v40, v[41:42], v[43:44] offset1:1
	ds_write2_b64 v40, v[45:46], v[47:48] offset0:2 offset1:3
	ds_write_b64 v40, v[54:55] offset:32
	;; [unrolled: 3-line block ×3, first 2 shown]
	s_waitcnt lgkmcnt(0)
	; wave barrier
	s_waitcnt lgkmcnt(0)
	ds_read_b32 v53, v60
	ds_read2_b32 v[48:49], v62 offset0:60 offset1:76
	ds_read2_b32 v[42:43], v62 offset0:92 offset1:120
	;; [unrolled: 1-line block ×8, first 2 shown]
	ds_read2_b32 v[38:39], v19 offset1:16
	ds_read2_b32 v[22:23], v19 offset0:120 offset1:136
	ds_read_b32 v51, v64
	ds_read_b32 v52, v56
	ds_read_b32 v70, v62 offset:1808
                                        ; implicit-def: $vgpr41
                                        ; implicit-def: $vgpr55
	s_and_saveexec_b64 s[2:3], s[0:1]
	s_cbranch_execz .LBB0_17
; %bb.16:
	v_add_u32_e32 v7, 0x200, v62
	ds_read2_b32 v[7:8], v7 offset0:100 offset1:160
	v_add3_u32 v4, 0, v50, v74
	ds_read2_b32 v[5:6], v62 offset0:108 offset1:168
	v_add_u32_e32 v9, 0x400, v62
	ds_read2_b32 v[40:41], v9 offset0:92 offset1:152
	ds_read_b32 v4, v4
	ds_read_b32 v55, v62 offset:1872
	s_waitcnt lgkmcnt(4)
	v_mov_b32_e32 v30, v8
	s_waitcnt lgkmcnt(2)
	v_mov_b32_e32 v31, v40
.LBB0_17:
	s_or_b64 exec, exec, s[2:3]
	v_add_u32_e32 v8, -10, v94
	v_cmp_gt_u32_e64 s[2:3], 10, v94
	v_cndmask_b32_e64 v54, v8, v94, s[2:3]
	v_mul_i32_i24_e32 v8, 7, v54
	v_mov_b32_e32 v9, 0
	v_lshlrev_b64 v[8:9], 3, v[8:9]
	v_add_co_u32_e64 v12, s[2:3], s12, v8
	v_mov_b32_e32 v8, s13
	v_addc_co_u32_e64 v13, s[2:3], v8, v9, s[2:3]
	global_load_dwordx2 v[71:72], v[12:13], off offset:48
	global_load_dwordx4 v[102:105], v[12:13], off offset:32
	global_load_dwordx4 v[8:11], v[12:13], off offset:16
	global_load_dwordx4 v[65:68], v[12:13], off
	s_movk_i32 s2, 0xcd
	s_waitcnt vmcnt(2) lgkmcnt(8)
	v_mul_f32_e32 v61, v17, v103
	s_waitcnt vmcnt(1)
	v_mul_f32_e32 v58, v46, v9
	v_mul_f32_e32 v9, v90, v9
	v_fmac_f32_e32 v58, v90, v8
	v_fma_f32 v46, v46, v8, -v9
	v_mul_f32_e32 v8, v88, v103
	s_waitcnt vmcnt(0)
	v_mul_f32_e32 v12, v92, v66
	v_fma_f32 v63, v17, v102, -v8
	v_mul_f32_e32 v8, v79, v105
	v_mul_f32_e32 v57, v48, v66
	v_fma_f32 v48, v48, v65, -v12
	v_mul_f32_e32 v59, v43, v68
	v_mul_f32_e32 v12, v83, v68
	s_waitcnt lgkmcnt(7)
	v_fma_f32 v69, v21, v104, -v8
	v_mul_f32_e32 v8, v86, v72
	v_fmac_f32_e32 v59, v83, v67
	v_fma_f32 v40, v43, v67, -v12
	s_waitcnt lgkmcnt(6)
	v_fma_f32 v67, v15, v71, -v8
	v_mul_lo_u16_sdwa v8, v95, s2 dst_sel:DWORD dst_unused:UNUSED_PAD src0_sel:BYTE_0 src1_sel:DWORD
	v_lshrrev_b16_e32 v9, 11, v8
	v_mul_lo_u16_e32 v8, 10, v9
	v_sub_u16_e32 v43, v95, v8
	v_mul_lo_u16_e32 v8, 7, v43
	v_mov_b32_e32 v12, 3
	v_mul_f32_e32 v68, v21, v105
	v_mul_f32_e32 v66, v15, v72
	v_lshlrev_b32_sdwa v8, v12, v8 dst_sel:DWORD dst_unused:UNUSED_PAD src0_sel:DWORD src1_sel:BYTE_0
	v_fmac_f32_e32 v61, v88, v102
	v_fmac_f32_e32 v68, v79, v104
	;; [unrolled: 1-line block ×3, first 2 shown]
	global_load_dwordx2 v[71:72], v8, s[12:13] offset:48
	global_load_dwordx4 v[102:105], v8, s[12:13] offset:32
	global_load_dwordx4 v[12:15], v8, s[12:13] offset:16
	global_load_dwordx4 v[108:111], v8, s[12:13]
	v_fmac_f32_e32 v57, v92, v65
	v_mul_f32_e32 v65, v33, v11
	v_fmac_f32_e32 v65, v35, v10
	v_mul_lo_u16_e32 v9, 0x50, v9
	v_or_b32_e32 v9, v9, v43
	v_mov_b32_e32 v43, 2
	v_lshlrev_b32_sdwa v9, v43, v9 dst_sel:DWORD dst_unused:UNUSED_PAD src0_sel:DWORD src1_sel:BYTE_0
	v_add3_u32 v9, 0, v9, v74
	s_waitcnt vmcnt(0)
	v_mul_f32_e32 v8, v93, v109
	s_waitcnt lgkmcnt(5)
	v_mul_f32_e32 v83, v44, v111
	v_fma_f32 v76, v49, v108, -v8
	v_fmac_f32_e32 v83, v84, v110
	v_mul_f32_e32 v8, v84, v111
	v_mul_f32_e32 v84, v47, v13
	;; [unrolled: 1-line block ×4, first 2 shown]
	v_fmac_f32_e32 v84, v91, v12
	v_fma_f32 v106, v47, v12, -v13
	v_mul_f32_e32 v109, v18, v103
	v_mul_f32_e32 v12, v89, v103
	v_fmac_f32_e32 v109, v89, v102
	v_fma_f32 v102, v18, v102, -v12
	s_waitcnt lgkmcnt(3)
	v_mul_f32_e32 v103, v22, v105
	v_mul_f32_e32 v12, v80, v105
	v_fmac_f32_e32 v103, v80, v104
	v_fma_f32 v104, v22, v104, -v12
	v_mul_f32_e32 v12, v87, v72
	v_fma_f32 v8, v44, v110, -v8
	v_fma_f32 v110, v16, v71, -v12
	v_mul_lo_u16_sdwa v12, v97, s2 dst_sel:DWORD dst_unused:UNUSED_PAD src0_sel:BYTE_0 src1_sel:DWORD
	v_lshrrev_b16_e32 v12, 11, v12
	v_mul_lo_u16_e32 v13, 10, v12
	v_sub_u16_e32 v13, v97, v13
	v_mov_b32_e32 v44, 7
	v_mul_f32_e32 v105, v16, v72
	v_mul_u32_u24_sdwa v16, v13, v44 dst_sel:DWORD dst_unused:UNUSED_PAD src0_sel:BYTE_0 src1_sel:DWORD
	v_lshlrev_b32_e32 v47, 3, v16
	v_fmac_f32_e32 v75, v93, v108
	v_fmac_f32_e32 v105, v87, v71
	global_load_dwordx2 v[21:22], v47, s[12:13] offset:48
	global_load_dwordx4 v[86:89], v47, s[12:13] offset:32
	global_load_dwordx4 v[16:19], v47, s[12:13] offset:16
	global_load_dwordx4 v[90:93], v47, s[12:13]
	v_mul_f32_e32 v108, v38, v15
	v_fmac_f32_e32 v108, v36, v14
	v_mul_u32_u24_e32 v12, 0x50, v12
	v_or_b32_sdwa v12, v12, v13 dst_sel:DWORD dst_unused:UNUSED_PAD src0_sel:DWORD src1_sel:BYTE_0
	v_lshlrev_b32_e32 v12, 2, v12
	s_waitcnt vmcnt(0)
	v_mul_f32_e32 v111, v42, v91
	v_mul_f32_e32 v47, v82, v91
	v_fmac_f32_e32 v111, v82, v90
	v_fma_f32 v82, v42, v90, -v47
	v_mul_f32_e32 v90, v45, v93
	v_fmac_f32_e32 v90, v85, v92
	v_mul_f32_e32 v42, v85, v93
	v_mul_f32_e32 v85, v32, v17
	;; [unrolled: 1-line block ×3, first 2 shown]
	v_fmac_f32_e32 v85, v34, v16
	v_fma_f32 v91, v32, v16, -v17
	v_mul_f32_e32 v93, v20, v87
	v_mul_f32_e32 v16, v78, v87
	v_fmac_f32_e32 v93, v78, v86
	v_fma_f32 v86, v20, v86, -v16
	v_mul_f32_e32 v87, v23, v89
	v_mul_f32_e32 v16, v81, v89
	v_fmac_f32_e32 v87, v81, v88
	v_fma_f32 v88, v23, v88, -v16
	s_waitcnt lgkmcnt(0)
	v_mul_f32_e32 v89, v70, v22
	v_mul_f32_e32 v16, v107, v22
	v_fmac_f32_e32 v89, v107, v21
	v_fma_f32 v107, v70, v21, -v16
	v_mul_lo_u16_sdwa v16, v96, s2 dst_sel:DWORD dst_unused:UNUSED_PAD src0_sel:BYTE_0 src1_sel:DWORD
	v_lshrrev_b16_e32 v47, 11, v16
	v_mul_lo_u16_e32 v16, 10, v47
	v_sub_u16_e32 v49, v96, v16
	v_mul_u32_u24_sdwa v16, v49, v44 dst_sel:DWORD dst_unused:UNUSED_PAD src0_sel:BYTE_0 src1_sel:DWORD
	v_lshlrev_b32_e32 v16, 3, v16
	v_fma_f32 v42, v45, v92, -v42
	global_load_dwordx4 v[20:23], v16, s[12:13] offset:16
	global_load_dwordx2 v[44:45], v16, s[12:13] offset:48
	global_load_dwordx4 v[70:73], v16, s[12:13] offset:32
	global_load_dwordx4 v[78:81], v16, s[12:13]
	v_sub_f32_e32 v32, v58, v66
	v_sub_f32_e32 v34, v46, v67
	v_mul_f32_e32 v92, v39, v19
	v_fmac_f32_e32 v92, v37, v18
	v_cmp_lt_u32_e64 s[2:3], 9, v94
	s_waitcnt lgkmcnt(0)
	; wave barrier
	s_waitcnt vmcnt(2)
	v_mul_f32_e32 v116, v55, v45
	v_fmac_f32_e32 v116, v101, v44
	s_waitcnt vmcnt(0)
	v_mul_f32_e32 v112, v5, v79
	v_fmac_f32_e32 v112, v1, v78
	v_mul_f32_e32 v1, v1, v79
	v_mul_f32_e32 v16, v6, v81
	v_fma_f32 v79, v5, v78, -v1
	v_fmac_f32_e32 v16, v2, v80
	v_mul_f32_e32 v1, v2, v81
	v_mul_f32_e32 v2, v3, v21
	v_fma_f32 v113, v7, v20, -v2
	v_mul_f32_e32 v2, v29, v71
	v_fma_f32 v114, v31, v70, -v2
	;; [unrolled: 2-line block ×4, first 2 shown]
	v_mul_f32_e32 v2, v101, v45
	v_fmac_f32_e32 v80, v3, v20
	v_mul_f32_e32 v81, v31, v71
	v_fma_f32 v101, v55, v44, -v2
	v_sub_f32_e32 v6, v100, v65
	v_sub_f32_e32 v2, v59, v68
	;; [unrolled: 1-line block ×4, first 2 shown]
	v_fmac_f32_e32 v81, v29, v70
	v_mul_f32_e32 v29, v41, v73
	v_fma_f32 v7, v100, 2.0, -v6
	v_fma_f32 v17, v59, 2.0, -v2
	v_sub_f32_e32 v21, v48, v63
	v_fma_f32 v31, v57, 2.0, -v20
	v_fma_f32 v41, v58, 2.0, -v32
	;; [unrolled: 1-line block ×3, first 2 shown]
	v_add_f32_e32 v46, v6, v3
	v_fma_f32 v5, v48, 2.0, -v21
	v_sub_f32_e32 v45, v7, v17
	v_fma_f32 v48, v6, 2.0, -v46
	v_sub_f32_e32 v6, v31, v41
	v_add_f32_e32 v34, v20, v34
	v_mov_b32_e32 v122, v46
	v_fma_f32 v17, v7, 2.0, -v45
	v_sub_f32_e32 v7, v5, v44
	v_fma_f32 v31, v31, 2.0, -v6
	v_sub_f32_e32 v32, v21, v32
	v_fma_f32 v41, v20, 2.0, -v34
	v_mov_b32_e32 v118, v48
	v_fmac_f32_e32 v122, 0x3f3504f3, v34
	v_fma_f32 v21, v21, 2.0, -v32
	v_sub_f32_e32 v100, v17, v31
	v_fmac_f32_e32 v118, 0xbf3504f3, v41
	v_add_f32_e32 v120, v45, v7
	v_mul_f32_e32 v31, 0x3f3504f3, v32
	v_fmac_f32_e32 v122, 0x3f3504f3, v32
	v_sub_f32_e32 v44, v99, v108
	v_sub_f32_e32 v32, v83, v103
	v_mul_f32_e32 v20, 0x3f3504f3, v21
	v_fmac_f32_e32 v118, 0x3f3504f3, v21
	v_fma_f32 v121, v45, 2.0, -v120
	v_mul_f32_e32 v21, 0x3f3504f3, v34
	v_fma_f32 v123, v46, 2.0, -v122
	v_fma_f32 v45, v99, 2.0, -v44
	v_sub_f32_e32 v34, v8, v104
	v_fma_f32 v46, v83, 2.0, -v32
	v_sub_f32_e32 v55, v76, v102
	v_sub_f32_e32 v59, v106, v110
	v_fma_f32 v117, v17, 2.0, -v100
	v_mul_f32_e32 v17, 0x3f3504f3, v41
	v_fma_f32 v119, v48, 2.0, -v118
	v_sub_f32_e32 v48, v75, v109
	v_fma_f32 v41, v76, 2.0, -v55
	v_sub_f32_e32 v58, v84, v105
	;; [unrolled: 2-line block ×3, first 2 shown]
	v_add_f32_e32 v66, v44, v34
	v_fma_f32 v57, v75, 2.0, -v48
	v_fma_f32 v61, v84, 2.0, -v58
	;; [unrolled: 1-line block ×4, first 2 shown]
	v_sub_f32_e32 v45, v41, v63
	v_add_f32_e32 v63, v48, v59
	v_sub_f32_e32 v44, v57, v61
	v_sub_f32_e32 v58, v55, v58
	v_fma_f32 v48, v48, 2.0, -v63
	v_mov_b32_e32 v99, v67
	v_fma_f32 v57, v57, 2.0, -v44
	v_fma_f32 v59, v55, 2.0, -v58
	v_fmac_f32_e32 v99, 0xbf3504f3, v48
	v_mov_b32_e32 v105, v66
	v_sub_f32_e32 v83, v46, v57
	v_fmac_f32_e32 v99, 0x3f3504f3, v59
	v_add_f32_e32 v103, v65, v45
	v_fmac_f32_e32 v105, 0x3f3504f3, v63
	v_fma_f32 v84, v46, 2.0, -v83
	v_mul_f32_e32 v46, 0x3f3504f3, v48
	v_mul_f32_e32 v55, 0x3f3504f3, v59
	v_fma_f32 v102, v67, 2.0, -v99
	v_fma_f32 v104, v65, 2.0, -v103
	v_mul_f32_e32 v59, 0x3f3504f3, v63
	v_fmac_f32_e32 v105, 0x3f3504f3, v58
	v_sub_f32_e32 v48, v98, v92
	v_sub_f32_e32 v69, v90, v87
	;; [unrolled: 1-line block ×6, first 2 shown]
	v_fmac_f32_e32 v29, v77, v72
	v_mul_f32_e32 v61, 0x3f3504f3, v58
	v_fma_f32 v106, v66, 2.0, -v105
	v_fma_f32 v57, v98, 2.0, -v48
	;; [unrolled: 1-line block ×5, first 2 shown]
	v_sub_f32_e32 v68, v91, v107
	v_fma_f32 v72, v85, 2.0, -v67
	v_add_f32_e32 v82, v48, v70
	v_fma_f32 v73, v91, 2.0, -v68
	v_sub_f32_e32 v58, v57, v58
	v_fma_f32 v48, v48, 2.0, -v82
	v_sub_f32_e32 v72, v66, v72
	v_add_f32_e32 v68, v63, v68
	v_fma_f32 v57, v57, 2.0, -v58
	v_fma_f32 v66, v66, 2.0, -v72
	;; [unrolled: 1-line block ×3, first 2 shown]
	v_mov_b32_e32 v87, v48
	v_mov_b32_e32 v91, v82
	v_sub_f32_e32 v67, v65, v67
	v_sub_f32_e32 v85, v57, v66
	v_mul_f32_e32 v75, 0x3f3504f3, v63
	v_fmac_f32_e32 v87, 0xbf3504f3, v63
	v_mul_f32_e32 v77, 0x3f3504f3, v68
	v_fmac_f32_e32 v91, 0x3f3504f3, v68
	v_sub_f32_e32 v63, v112, v81
	v_sub_f32_e32 v66, v79, v114
	;; [unrolled: 1-line block ×3, first 2 shown]
	v_fma_f32 v65, v65, 2.0, -v67
	v_fma_f32 v86, v57, 2.0, -v85
	;; [unrolled: 1-line block ×3, first 2 shown]
	v_add_f32_e32 v79, v63, v68
	v_fmac_f32_e32 v87, 0x3f3504f3, v65
	v_mul_f32_e32 v78, 0x3f3504f3, v67
	v_fmac_f32_e32 v91, 0x3f3504f3, v67
	v_fma_f32 v81, v112, 2.0, -v63
	v_sub_f32_e32 v67, v80, v116
	v_fma_f32 v63, v63, 2.0, -v79
	v_fma_f32 v88, v48, 2.0, -v87
	;; [unrolled: 1-line block ×3, first 2 shown]
	v_sub_f32_e32 v80, v66, v67
	v_mul_f32_e32 v67, 0x3f3504f3, v63
	v_mul_f32_e32 v63, 0x3f3504f3, v79
	v_mov_b32_e32 v79, 0x50
	v_cndmask_b32_e64 v79, 0, v79, s[2:3]
	v_sub_f32_e32 v73, v71, v73
	v_or_b32_e32 v54, v79, v54
	v_mul_f32_e32 v76, 0x3f3504f3, v65
	v_add_f32_e32 v89, v58, v73
	v_fma_f32 v65, v113, 2.0, -v68
	v_fma_f32 v66, v66, 2.0, -v80
	v_lshlrev_b32_e32 v54, 2, v54
	v_fma_f32 v90, v58, 2.0, -v89
	v_sub_f32_e32 v29, v16, v29
	v_sub_f32_e32 v58, v1, v115
	;; [unrolled: 1-line block ×4, first 2 shown]
	v_mul_f32_e32 v68, 0x3f3504f3, v66
	v_mul_f32_e32 v66, 0x3f3504f3, v80
	v_add3_u32 v79, 0, v54, v74
	v_add3_u32 v80, 0, v12, v74
	v_fma_f32 v82, v82, 2.0, -v91
	ds_write2_b32 v79, v117, v119 offset1:10
	ds_write2_b32 v79, v121, v123 offset0:20 offset1:30
	ds_write2_b32 v79, v100, v118 offset0:40 offset1:50
	ds_write2_b32 v79, v120, v122 offset0:60 offset1:70
	ds_write2_b32 v9, v84, v102 offset1:10
	ds_write2_b32 v9, v104, v106 offset0:20 offset1:30
	ds_write2_b32 v9, v83, v99 offset0:40 offset1:50
	ds_write2_b32 v9, v103, v105 offset0:60 offset1:70
	;; [unrolled: 4-line block ×3, first 2 shown]
	s_and_saveexec_b64 s[2:3], s[0:1]
	s_cbranch_execz .LBB0_19
; %bb.18:
	v_mul_f32_e32 v12, v30, v23
	v_fmac_f32_e32 v12, v28, v22
	v_sub_f32_e32 v12, v0, v12
	v_fma_f32 v0, v0, 2.0, -v12
	v_fma_f32 v16, v16, 2.0, -v29
	v_add_f32_e32 v13, v12, v58
	v_sub_f32_e32 v16, v0, v16
	v_add_f32_e32 v43, v13, v63
	v_add_f32_e32 v82, v16, v65
	;; [unrolled: 1-line block ×3, first 2 shown]
	v_fma_f32 v83, v16, 2.0, -v82
	v_fma_f32 v12, v12, 2.0, -v13
	;; [unrolled: 1-line block ×4, first 2 shown]
	v_mul_u32_u24_e32 v81, 0x50, v47
	v_fma_f32 v54, v13, 2.0, -v43
	v_sub_f32_e32 v13, v12, v67
	v_or_b32_sdwa v81, v81, v49 dst_sel:DWORD dst_unused:UNUSED_PAD src0_sel:DWORD src1_sel:BYTE_0
	v_add_f32_e32 v13, v68, v13
	v_sub_f32_e32 v16, v0, v16
	v_lshlrev_b32_e32 v81, 2, v81
	v_fma_f32 v12, v12, 2.0, -v13
	v_fma_f32 v0, v0, 2.0, -v16
	v_add3_u32 v81, 0, v81, v74
	ds_write2_b32 v81, v0, v12 offset1:10
	ds_write2_b32 v81, v83, v54 offset0:20 offset1:30
	ds_write2_b32 v81, v16, v13 offset0:40 offset1:50
	;; [unrolled: 1-line block ×3, first 2 shown]
.LBB0_19:
	s_or_b64 exec, exec, s[2:3]
	v_mul_f32_e32 v0, v35, v11
	v_fma_f32 v0, v33, v10, -v0
	v_sub_f32_e32 v0, v53, v0
	v_fma_f32 v12, v53, 2.0, -v0
	v_fma_f32 v3, v40, 2.0, -v3
	v_sub_f32_e32 v3, v12, v3
	v_fma_f32 v12, v12, 2.0, -v3
	v_sub_f32_e32 v2, v0, v2
	v_fma_f32 v5, v5, 2.0, -v7
	v_mul_f32_e32 v10, v36, v15
	v_fma_f32 v0, v0, 2.0, -v2
	v_sub_f32_e32 v5, v12, v5
	v_fma_f32 v10, v38, v14, -v10
	v_fma_f32 v7, v12, 2.0, -v5
	v_sub_f32_e32 v12, v0, v20
	v_sub_f32_e32 v20, v12, v17
	v_add_f32_e32 v12, v2, v31
	v_sub_f32_e32 v10, v52, v10
	v_sub_f32_e32 v21, v12, v21
	v_fma_f32 v12, v52, 2.0, -v10
	v_fma_f32 v8, v8, 2.0, -v34
	v_sub_f32_e32 v8, v12, v8
	v_fma_f32 v12, v12, 2.0, -v8
	v_sub_f32_e32 v13, v10, v32
	v_fma_f32 v14, v41, 2.0, -v45
	v_fma_f32 v10, v10, 2.0, -v13
	v_sub_f32_e32 v81, v12, v14
	v_mul_f32_e32 v11, v37, v19
	v_fma_f32 v82, v12, 2.0, -v81
	v_sub_f32_e32 v12, v10, v55
	v_fma_f32 v11, v39, v18, -v11
	v_sub_f32_e32 v83, v12, v46
	v_add_f32_e32 v12, v13, v61
	v_sub_f32_e32 v85, v12, v59
	v_sub_f32_e32 v11, v51, v11
	v_fma_f32 v86, v13, 2.0, -v85
	v_fma_f32 v12, v51, 2.0, -v11
	;; [unrolled: 1-line block ×3, first 2 shown]
	v_sub_f32_e32 v13, v12, v13
	v_fma_f32 v12, v12, 2.0, -v13
	v_sub_f32_e32 v14, v11, v69
	v_fma_f32 v15, v71, 2.0, -v73
	v_fma_f32 v11, v11, 2.0, -v14
	v_sub_f32_e32 v69, v12, v15
	v_fma_f32 v70, v12, 2.0, -v69
	v_sub_f32_e32 v12, v11, v76
	v_sub_f32_e32 v71, v12, v75
	v_add_f32_e32 v12, v14, v78
	v_sub_f32_e32 v75, v12, v77
	v_sub_f32_e32 v72, v13, v72
	v_fma_f32 v76, v14, 2.0, -v75
	v_add_u32_e32 v14, 0x400, v62
	v_sub_f32_e32 v84, v8, v44
	v_fma_f32 v73, v13, 2.0, -v72
	s_waitcnt lgkmcnt(0)
	; wave barrier
	s_waitcnt lgkmcnt(0)
	ds_read2_b32 v[31:32], v62 offset0:64 offset1:80
	ds_read2_b32 v[37:38], v62 offset0:160 offset1:176
	;; [unrolled: 1-line block ×6, first 2 shown]
	ds_read2_b32 v[45:46], v14 offset1:16
	ds_read2_b32 v[43:44], v14 offset0:160 offset1:176
	ds_read2_b32 v[53:54], v62 offset0:192 offset1:208
	;; [unrolled: 1-line block ×3, first 2 shown]
	v_add3_u32 v19, 0, v50, v74
	ds_read_b32 v59, v60
	ds_read_b32 v61, v56
	;; [unrolled: 1-line block ×4, first 2 shown]
	ds_read2_b32 v[12:13], v62 offset0:128 offset1:144
	ds_read2_b32 v[16:17], v14 offset0:32 offset1:48
	;; [unrolled: 1-line block ×3, first 2 shown]
	v_fma_f32 v0, v0, 2.0, -v20
	v_sub_f32_e32 v6, v3, v6
	v_fma_f32 v3, v3, 2.0, -v6
	v_fma_f32 v2, v2, 2.0, -v21
	;; [unrolled: 1-line block ×5, first 2 shown]
	s_waitcnt lgkmcnt(0)
	; wave barrier
	s_waitcnt lgkmcnt(0)
	ds_write2_b32 v79, v7, v0 offset1:10
	ds_write2_b32 v79, v3, v2 offset0:20 offset1:30
	ds_write2_b32 v79, v5, v20 offset0:40 offset1:50
	ds_write2_b32 v79, v6, v21 offset0:60 offset1:70
	ds_write2_b32 v9, v82, v10 offset1:10
	ds_write2_b32 v9, v8, v86 offset0:20 offset1:30
	ds_write2_b32 v9, v81, v83 offset0:40 offset1:50
	ds_write2_b32 v9, v84, v85 offset0:60 offset1:70
	;; [unrolled: 4-line block ×3, first 2 shown]
	s_and_saveexec_b64 s[2:3], s[0:1]
	s_cbranch_execz .LBB0_21
; %bb.20:
	v_mul_f32_e32 v0, v28, v23
	v_fma_f32 v0, v30, v22, -v0
	v_sub_f32_e32 v0, v4, v0
	v_fma_f32 v2, v4, 2.0, -v0
	v_fma_f32 v1, v1, 2.0, -v58
	v_sub_f32_e32 v3, v0, v29
	v_sub_f32_e32 v1, v2, v1
	v_fma_f32 v0, v0, 2.0, -v3
	v_mul_u32_u24_e32 v8, 0x50, v47
	v_fma_f32 v2, v2, 2.0, -v1
	v_fma_f32 v4, v57, 2.0, -v65
	v_sub_f32_e32 v5, v0, v68
	v_or_b32_sdwa v8, v8, v49 dst_sel:DWORD dst_unused:UNUSED_PAD src0_sel:DWORD src1_sel:BYTE_0
	v_sub_f32_e32 v4, v2, v4
	v_sub_f32_e32 v5, v5, v67
	v_add_f32_e32 v7, v3, v66
	v_lshlrev_b32_e32 v8, 2, v8
	v_fma_f32 v2, v2, 2.0, -v4
	v_fma_f32 v0, v0, 2.0, -v5
	v_sub_f32_e32 v6, v1, v48
	v_sub_f32_e32 v7, v7, v63
	v_add3_u32 v8, 0, v8, v74
	v_fma_f32 v1, v1, 2.0, -v6
	v_fma_f32 v3, v3, 2.0, -v7
	ds_write2_b32 v8, v2, v0 offset1:10
	ds_write2_b32 v8, v1, v3 offset0:20 offset1:30
	ds_write2_b32 v8, v4, v5 offset0:40 offset1:50
	;; [unrolled: 1-line block ×3, first 2 shown]
.LBB0_21:
	s_or_b64 exec, exec, s[2:3]
	s_waitcnt lgkmcnt(0)
	; wave barrier
	s_waitcnt lgkmcnt(0)
	s_and_saveexec_b64 s[0:1], vcc
	s_cbranch_execz .LBB0_23
; %bb.22:
	v_or_b32_e32 v0, 64, v94
	v_mul_u32_u24_e32 v0, 5, v0
	v_lshlrev_b32_e32 v10, 3, v0
	global_load_dwordx4 v[0:3], v10, s[12:13] offset:560
	global_load_dwordx4 v[4:7], v10, s[12:13] offset:576
	global_load_dwordx2 v[8:9], v10, s[12:13] offset:592
	v_mul_i32_i24_e32 v79, 5, v96
	v_mov_b32_e32 v80, 0
	v_mul_lo_u32 v20, s5, v26
	v_mul_lo_u32 v21, s4, v27
	v_mad_u64_u32 v[26:27], s[0:1], s4, v26, 0
	v_lshlrev_b64 v[10:11], 3, v[79:80]
	v_mov_b32_e32 v58, s13
	v_add_co_u32_e32 v10, vcc, s12, v10
	v_add_u32_e32 v57, 0x400, v62
	v_addc_co_u32_e32 v11, vcc, v58, v11, vcc
	ds_read2_b32 v[28:29], v62 offset0:64 offset1:80
	ds_read2_b32 v[47:48], v62 offset0:224 offset1:240
	ds_read2_b32 v[77:78], v62 offset0:128 offset1:144
	ds_read2_b32 v[49:50], v57 offset0:128 offset1:144
	ds_read2_b32 v[81:82], v57 offset0:32 offset1:48
	ds_read2_b32 v[83:84], v57 offset0:192 offset1:208
	v_add3_u32 v27, v27, v21, v20
	global_load_dwordx2 v[85:86], v[10:11], off offset:592
	global_load_dwordx4 v[20:23], v[10:11], off offset:576
	global_load_dwordx4 v[65:68], v[10:11], off offset:560
	v_mul_i32_i24_e32 v79, 5, v97
	s_mov_b32 s0, 0xcccccccd
	s_movk_i32 s1, 0x50
	v_lshlrev_b64 v[26:27], 3, v[26:27]
	v_lshlrev_b64 v[24:25], 3, v[24:25]
	s_waitcnt vmcnt(5)
	v_mul_f32_e32 v10, v33, v3
	s_waitcnt lgkmcnt(4)
	v_mul_f32_e32 v3, v47, v3
	s_waitcnt vmcnt(4) lgkmcnt(1)
	v_mul_f32_e32 v63, v5, v82
	s_waitcnt vmcnt(3) lgkmcnt(0)
	v_mul_f32_e32 v69, v9, v84
	v_mul_f32_e32 v5, v17, v5
	;; [unrolled: 1-line block ×6, first 2 shown]
	v_fma_f32 v10, v2, v47, -v10
	v_fmac_f32_e32 v3, v33, v2
	v_fmac_f32_e32 v63, v17, v4
	v_fma_f32 v2, v4, v82, -v5
	v_fma_f32 v4, v8, v84, -v9
	v_mul_f32_e32 v7, v49, v7
	v_fma_f32 v11, v6, v49, -v11
	v_fmac_f32_e32 v30, v13, v0
	v_fmac_f32_e32 v69, v15, v8
	v_fma_f32 v0, v0, v78, -v1
	v_add_f32_e32 v9, v2, v4
	v_fmac_f32_e32 v7, v35, v6
	v_add_f32_e32 v1, v10, v11
	v_add_f32_e32 v6, v63, v69
	v_sub_f32_e32 v8, v2, v4
	v_add_f32_e32 v15, v28, v10
	v_add_f32_e32 v2, v0, v2
	v_fma_f32 v0, -0.5, v9, v0
	v_sub_f32_e32 v13, v63, v69
	v_add_f32_e32 v17, v3, v7
	v_sub_f32_e32 v10, v10, v11
	v_fma_f32 v28, -0.5, v1, v28
	v_fma_f32 v1, -0.5, v6, v30
	v_add_f32_e32 v6, v15, v11
	v_add_f32_e32 v11, v2, v4
	v_mov_b32_e32 v4, v0
	v_fma_f32 v15, -0.5, v17, v31
	v_mov_b32_e32 v2, v1
	v_fmac_f32_e32 v4, 0xbf5db3d7, v13
	v_sub_f32_e32 v5, v3, v7
	v_add_f32_e32 v3, v31, v3
	v_fmac_f32_e32 v0, 0x3f5db3d7, v13
	v_mov_b32_e32 v31, v15
	v_fmac_f32_e32 v2, 0x3f5db3d7, v8
	v_mul_f32_e32 v13, 0xbf5db3d7, v4
	v_fmac_f32_e32 v31, 0x3f5db3d7, v10
	v_mul_f32_e32 v9, -0.5, v4
	v_fmac_f32_e32 v13, -0.5, v2
	v_add_f32_e32 v17, v3, v7
	v_fmac_f32_e32 v1, 0xbf5db3d7, v8
	v_sub_f32_e32 v3, v6, v11
	v_fmac_f32_e32 v15, 0xbf5db3d7, v10
	v_mul_f32_e32 v8, 0.5, v0
	v_mul_f32_e32 v10, 0xbf5db3d7, v0
	v_fmac_f32_e32 v9, 0x3f5db3d7, v2
	v_sub_f32_e32 v0, v31, v13
	v_add_f32_e32 v2, v30, v63
	v_add_f32_e32 v11, v6, v11
	;; [unrolled: 1-line block ×3, first 2 shown]
	v_lshlrev_b64 v[30:31], 3, v[79:80]
	v_add_f32_e32 v33, v2, v69
	v_add_co_u32_e32 v30, vcc, s12, v30
	v_addc_co_u32_e32 v31, vcc, v58, v31, vcc
	global_load_dwordx4 v[69:72], v[30:31], off offset:576
	global_load_dwordx4 v[73:76], v[30:31], off offset:560
	ds_read2_b32 v[87:88], v62 offset0:192 offset1:208
	ds_read2_b32 v[89:90], v57 offset0:96 offset1:112
	v_mov_b32_e32 v7, v28
	v_fmac_f32_e32 v28, 0x3f5db3d7, v5
	v_fmac_f32_e32 v7, 0xbf5db3d7, v5
	;; [unrolled: 1-line block ×3, first 2 shown]
	v_fmac_f32_e32 v10, 0.5, v1
	v_sub_f32_e32 v5, v28, v8
	v_sub_f32_e32 v4, v15, v10
	;; [unrolled: 1-line block ×4, first 2 shown]
	v_add_f32_e32 v7, v7, v9
	v_add_f32_e32 v9, v28, v8
	;; [unrolled: 1-line block ×4, first 2 shown]
	ds_read_b32 v17, v19
	ds_read_b32 v33, v64
	global_load_dwordx2 v[30:31], v[30:31], off offset:592
	s_waitcnt vmcnt(3)
	v_mul_f32_e32 v13, v54, v68
	s_waitcnt lgkmcnt(3)
	v_fma_f32 v28, v88, v67, -v13
	v_mul_f32_e32 v13, v52, v23
	v_mul_f32_e32 v47, v88, v68
	s_waitcnt lgkmcnt(2)
	v_mul_f32_e32 v23, v90, v23
	v_fma_f32 v19, v22, v90, -v13
	v_fmac_f32_e32 v47, v54, v67
	v_fmac_f32_e32 v23, v52, v22
	v_mul_f32_e32 v52, v16, v20
	v_mul_f32_e32 v54, v86, v83
	v_add_f32_e32 v13, v28, v19
	v_mul_f32_e32 v49, v12, v65
	v_fmac_f32_e32 v52, v81, v21
	v_fmac_f32_e32 v54, v14, v85
	s_waitcnt lgkmcnt(1)
	v_fma_f32 v35, -0.5, v13, v17
	v_fmac_f32_e32 v49, v77, v66
	v_add_f32_e32 v13, v52, v54
	v_fma_f32 v63, -0.5, v13, v49
	v_mul_f32_e32 v13, v16, v21
	v_fma_f32 v16, v81, v20, -v13
	v_mul_f32_e32 v13, v14, v86
	v_fma_f32 v14, v85, v83, -v13
	;; [unrolled: 2-line block ×3, first 2 shown]
	v_add_f32_e32 v13, v16, v14
	v_fma_f32 v64, -0.5, v13, v12
	v_sub_f32_e32 v65, v52, v54
	v_add_f32_e32 v12, v12, v16
	v_sub_f32_e32 v20, v16, v14
	v_mov_b32_e32 v21, v63
	v_mov_b32_e32 v66, v64
	v_fmac_f32_e32 v64, 0x3f5db3d7, v65
	v_add_f32_e32 v68, v12, v14
	v_add_f32_e32 v12, v47, v23
	v_sub_f32_e32 v15, v47, v23
	v_fmac_f32_e32 v21, 0x3f5db3d7, v20
	v_fmac_f32_e32 v66, 0xbf5db3d7, v65
	;; [unrolled: 1-line block ×3, first 2 shown]
	v_mul_f32_e32 v20, 0.5, v64
	v_fma_f32 v77, -0.5, v12, v18
	v_sub_f32_e32 v14, v28, v19
	v_mul_f32_e32 v64, 0xbf5db3d7, v64
	v_mov_b32_e32 v22, v35
	v_mul_f32_e32 v67, -0.5, v66
	v_fmac_f32_e32 v35, 0x3f5db3d7, v15
	v_fmac_f32_e32 v20, 0x3f5db3d7, v63
	v_add_f32_e32 v17, v17, v28
	v_mov_b32_e32 v28, v77
	v_mul_f32_e32 v66, 0xbf5db3d7, v66
	v_fmac_f32_e32 v77, 0xbf5db3d7, v14
	v_fmac_f32_e32 v64, 0.5, v63
	v_mul_i32_i24_e32 v79, 5, v95
	v_fmac_f32_e32 v22, 0xbf5db3d7, v15
	v_fmac_f32_e32 v67, 0x3f5db3d7, v21
	v_sub_f32_e32 v15, v35, v20
	v_fmac_f32_e32 v28, 0x3f5db3d7, v14
	v_fmac_f32_e32 v66, -0.5, v21
	v_sub_f32_e32 v14, v77, v64
	v_add_f32_e32 v21, v35, v20
	v_add_f32_e32 v20, v77, v64
	v_lshlrev_b64 v[63:64], 3, v[79:80]
	v_sub_f32_e32 v13, v22, v67
	v_add_f32_e32 v65, v17, v19
	v_add_f32_e32 v16, v18, v47
	v_add_f32_e32 v19, v22, v67
	v_add_co_u32_e32 v67, vcc, s12, v63
	v_sub_f32_e32 v17, v65, v68
	v_add_f32_e32 v47, v16, v23
	v_add_f32_e32 v23, v65, v68
	v_addc_co_u32_e32 v68, vcc, v58, v64, vcc
	v_sub_f32_e32 v12, v28, v66
	v_add_f32_e32 v18, v28, v66
	global_load_dwordx4 v[63:66], v[67:68], off offset:560
	global_load_dwordx2 v[81:82], v[67:68], off offset:592
	global_load_dwordx4 v[77:80], v[67:68], off offset:576
	v_add_f32_e32 v16, v49, v52
	ds_read2_b32 v[85:86], v57 offset0:160 offset1:176
	v_add_f32_e32 v49, v16, v54
	s_waitcnt vmcnt(4)
	v_mul_f32_e32 v28, v53, v76
	v_mul_f32_e32 v54, v87, v76
	ds_read2_b32 v[83:84], v57 offset1:16
	v_fma_f32 v28, v87, v75, -v28
	v_fmac_f32_e32 v54, v53, v75
	ds_read2_b32 v[75:76], v62 offset0:96 offset1:112
	s_waitcnt vmcnt(3)
	v_mul_f32_e32 v68, v44, v30
	v_mul_f32_e32 v67, v46, v69
	s_waitcnt lgkmcnt(2)
	v_fmac_f32_e32 v68, v86, v31
	v_mul_f32_e32 v46, v46, v70
	v_mul_f32_e32 v31, v44, v31
	;; [unrolled: 1-line block ×3, first 2 shown]
	s_waitcnt lgkmcnt(1)
	v_fma_f32 v46, v84, v69, -v46
	v_fma_f32 v30, v86, v30, -v31
	v_mul_f32_e32 v31, v42, v74
	v_mul_f32_e32 v35, v51, v72
	v_fmac_f32_e32 v53, v51, v71
	v_mul_f32_e32 v51, v42, v73
	v_fmac_f32_e32 v67, v84, v70
	s_waitcnt lgkmcnt(0)
	v_fma_f32 v42, v76, v73, -v31
	v_add_f32_e32 v31, v46, v30
	v_fma_f32 v35, v89, v71, -v35
	v_fmac_f32_e32 v51, v76, v74
	v_add_f32_e32 v52, v67, v68
	v_fma_f32 v70, -0.5, v31, v42
	v_sub_f32_e32 v16, v47, v49
	v_add_f32_e32 v22, v47, v49
	v_add_f32_e32 v47, v28, v35
	v_fma_f32 v71, -0.5, v52, v51
	v_sub_f32_e32 v52, v67, v68
	v_mov_b32_e32 v72, v70
	ds_read_b32 v49, v56
	v_fma_f32 v56, -0.5, v47, v33
	v_sub_f32_e32 v44, v46, v30
	v_mov_b32_e32 v69, v71
	v_fmac_f32_e32 v72, 0xbf5db3d7, v52
	v_add_f32_e32 v42, v42, v46
	v_sub_f32_e32 v47, v54, v53
	v_mov_b32_e32 v58, v56
	v_fmac_f32_e32 v69, 0x3f5db3d7, v44
	v_mul_f32_e32 v73, -0.5, v72
	v_add_f32_e32 v33, v33, v28
	v_add_f32_e32 v42, v42, v30
	v_add_f32_e32 v30, v54, v53
	v_fmac_f32_e32 v58, 0xbf5db3d7, v47
	v_fmac_f32_e32 v73, 0x3f5db3d7, v69
	v_add_f32_e32 v33, v33, v35
	v_fma_f32 v76, -0.5, v30, v55
	v_add_f32_e32 v54, v55, v54
	v_sub_f32_e32 v31, v58, v73
	v_fmac_f32_e32 v70, 0x3f5db3d7, v52
	v_sub_f32_e32 v52, v33, v42
	v_sub_f32_e32 v28, v28, v35
	v_mov_b32_e32 v35, v76
	v_add_f32_e32 v90, v54, v53
	v_add_f32_e32 v54, v58, v73
	;; [unrolled: 1-line block ×3, first 2 shown]
	v_mul_u32_u24_e32 v33, 5, v94
	v_fmac_f32_e32 v71, 0xbf5db3d7, v44
	v_mul_f32_e32 v44, 0.5, v70
	v_fmac_f32_e32 v35, 0x3f5db3d7, v28
	v_mul_f32_e32 v84, 0xbf5db3d7, v72
	v_fmac_f32_e32 v76, 0xbf5db3d7, v28
	v_mul_f32_e32 v28, 0xbf5db3d7, v70
	v_add_f32_e32 v51, v51, v67
	v_lshlrev_b32_e32 v33, 3, v33
	v_fmac_f32_e32 v44, 0x3f5db3d7, v71
	v_fmac_f32_e32 v84, -0.5, v69
	v_fmac_f32_e32 v28, 0.5, v71
	v_add_f32_e32 v91, v51, v68
	global_load_dwordx4 v[67:70], v33, s[12:13] offset:576
	global_load_dwordx4 v[71:74], v33, s[12:13] offset:560
	ds_read2_b32 v[86:87], v62 offset0:160 offset1:176
	v_fmac_f32_e32 v56, 0x3f5db3d7, v47
	v_sub_f32_e32 v47, v56, v44
	v_sub_f32_e32 v46, v76, v28
	v_add_f32_e32 v56, v56, v44
	v_add_f32_e32 v55, v76, v28
	s_waitcnt vmcnt(4)
	v_mul_f32_e32 v28, v38, v66
	s_waitcnt lgkmcnt(0)
	v_mul_f32_e32 v44, v87, v66
	v_fma_f32 v28, v87, v65, -v28
	v_fmac_f32_e32 v44, v38, v65
	global_load_dwordx2 v[65:66], v33, s[12:13] offset:592
	ds_read2_b32 v[88:89], v57 offset0:64 offset1:80
	v_sub_f32_e32 v30, v35, v84
	v_add_f32_e32 v53, v35, v84
	s_waitcnt vmcnt(3)
	v_mul_f32_e32 v35, v40, v80
	v_mul_f32_e32 v76, v41, v63
	s_waitcnt lgkmcnt(0)
	v_mul_f32_e32 v38, v89, v80
	v_fma_f32 v35, v89, v79, -v35
	v_fmac_f32_e32 v38, v40, v79
	v_mul_f32_e32 v79, v45, v77
	v_mul_f32_e32 v80, v43, v81
	v_fmac_f32_e32 v79, v83, v78
	v_fmac_f32_e32 v80, v85, v82
	v_add_f32_e32 v42, v28, v35
	v_fmac_f32_e32 v76, v75, v64
	v_add_f32_e32 v40, v79, v80
	ds_read_b32 v84, v60
	v_fma_f32 v60, -0.5, v42, v49
	v_fma_f32 v42, -0.5, v40, v76
	v_mul_f32_e32 v40, v45, v78
	v_mul_f32_e32 v43, v43, v82
	v_fma_f32 v40, v83, v77, -v40
	v_fma_f32 v45, v85, v81, -v43
	v_mul_f32_e32 v41, v41, v64
	v_fma_f32 v63, v75, v63, -v41
	v_add_f32_e32 v41, v40, v45
	v_fma_f32 v64, -0.5, v41, v63
	v_sub_f32_e32 v43, v40, v45
	v_sub_f32_e32 v75, v79, v80
	v_mov_b32_e32 v78, v64
	v_add_f32_e32 v40, v63, v40
	v_fmac_f32_e32 v78, 0xbf5db3d7, v75
	v_fmac_f32_e32 v64, 0x3f5db3d7, v75
	v_add_f32_e32 v75, v40, v45
	v_add_f32_e32 v40, v44, v38
	;; [unrolled: 1-line block ×3, first 2 shown]
	v_fma_f32 v82, -0.5, v40, v61
	v_sub_f32_e32 v33, v44, v38
	v_mov_b32_e32 v77, v42
	v_add_f32_e32 v49, v49, v35
	v_sub_f32_e32 v28, v28, v35
	v_mov_b32_e32 v35, v82
	v_add_f32_e32 v44, v61, v44
	v_mov_b32_e32 v62, v60
	v_fmac_f32_e32 v77, 0x3f5db3d7, v43
	v_mul_f32_e32 v81, -0.5, v78
	v_fmac_f32_e32 v42, 0xbf5db3d7, v43
	v_fmac_f32_e32 v35, 0x3f5db3d7, v28
	;; [unrolled: 1-line block ×3, first 2 shown]
	v_mul_f32_e32 v28, 0xbf5db3d7, v64
	v_add_f32_e32 v38, v44, v38
	v_add_f32_e32 v44, v76, v79
	v_fmac_f32_e32 v62, 0xbf5db3d7, v33
	v_fmac_f32_e32 v81, 0x3f5db3d7, v77
	;; [unrolled: 1-line block ×3, first 2 shown]
	v_mul_f32_e32 v33, 0.5, v64
	v_fmac_f32_e32 v28, 0.5, v42
	v_add_f32_e32 v64, v44, v80
	v_sub_f32_e32 v41, v62, v81
	v_fmac_f32_e32 v33, 0x3f5db3d7, v42
	v_sub_f32_e32 v45, v49, v75
	v_sub_f32_e32 v42, v82, v28
	;; [unrolled: 1-line block ×3, first 2 shown]
	v_add_f32_e32 v61, v62, v81
	v_add_f32_e32 v76, v49, v75
	;; [unrolled: 1-line block ×4, first 2 shown]
	v_sub_f32_e32 v43, v60, v33
	v_mul_f32_e32 v78, 0xbf5db3d7, v78
	s_waitcnt vmcnt(1)
	v_mul_f32_e32 v28, v37, v74
	v_mul_f32_e32 v64, v86, v74
	v_add_f32_e32 v63, v60, v33
	v_fma_f32 v28, v86, v73, -v28
	v_mul_f32_e32 v33, v39, v70
	v_fmac_f32_e32 v64, v37, v73
	v_mul_f32_e32 v37, v88, v70
	v_mul_f32_e32 v70, v34, v67
	v_fmac_f32_e32 v78, -0.5, v77
	v_fma_f32 v38, v88, v69, -v33
	v_fmac_f32_e32 v37, v39, v69
	s_waitcnt vmcnt(0)
	v_mul_f32_e32 v73, v36, v65
	v_mul_f32_e32 v69, v32, v71
	v_fmac_f32_e32 v70, v48, v68
	v_fmac_f32_e32 v73, v50, v66
	v_sub_f32_e32 v40, v35, v78
	v_add_f32_e32 v60, v35, v78
	v_fmac_f32_e32 v69, v29, v72
	v_add_f32_e32 v35, v70, v73
	v_fma_f32 v74, -0.5, v35, v69
	v_mul_f32_e32 v34, v34, v68
	v_mul_f32_e32 v35, v36, v66
	v_fma_f32 v34, v48, v67, -v34
	v_fma_f32 v35, v50, v65, -v35
	v_mul_f32_e32 v32, v32, v72
	v_fma_f32 v32, v29, v71, -v32
	v_add_f32_e32 v29, v34, v35
	v_sub_f32_e32 v36, v34, v35
	v_fma_f32 v50, -0.5, v29, v32
	v_add_f32_e32 v32, v32, v34
	v_mul_hi_u32 v34, v94, s0
	v_mov_b32_e32 v48, v74
	v_sub_f32_e32 v65, v70, v73
	v_mov_b32_e32 v66, v50
	v_fmac_f32_e32 v48, 0x3f5db3d7, v36
	v_fmac_f32_e32 v66, 0xbf5db3d7, v65
	;; [unrolled: 1-line block ×3, first 2 shown]
	s_waitcnt lgkmcnt(0)
	v_add_f32_e32 v36, v84, v28
	v_mul_f32_e32 v67, -0.5, v66
	v_fmac_f32_e32 v50, 0x3f5db3d7, v65
	v_add_f32_e32 v68, v36, v38
	v_mul_f32_e32 v66, 0xbf5db3d7, v66
	v_add_f32_e32 v36, v59, v64
	v_lshrrev_b32_e32 v34, 6, v34
	v_fmac_f32_e32 v67, 0x3f5db3d7, v48
	v_mul_f32_e32 v65, 0.5, v50
	v_fmac_f32_e32 v66, -0.5, v48
	v_mul_f32_e32 v48, 0xbf5db3d7, v50
	v_add_f32_e32 v50, v36, v37
	v_mul_lo_u32 v36, v34, s1
	v_add_f32_e32 v33, v28, v38
	v_add_f32_e32 v34, v69, v70
	v_fma_f32 v49, -0.5, v33, v84
	v_sub_u32_e32 v69, v94, v36
	v_sub_f32_e32 v33, v64, v37
	v_add_f32_e32 v71, v32, v35
	v_add_f32_e32 v32, v64, v37
	v_mad_u64_u32 v[36:37], s[2:3], s20, v69, 0
	v_fma_f32 v72, -0.5, v32, v59
	v_sub_f32_e32 v32, v28, v38
	v_add_f32_e32 v59, v34, v73
	v_mad_u64_u32 v[37:38], s[2:3], s21, v69, v[37:38]
	v_sub_f32_e32 v34, v50, v59
	v_add_f32_e32 v64, v50, v59
	v_mov_b32_e32 v50, s11
	v_add_co_u32_e32 v26, vcc, s10, v26
	v_addc_co_u32_e32 v27, vcc, v50, v27, vcc
	v_add_co_u32_e32 v24, vcc, v26, v24
	v_add_u32_e32 v50, 0x50, v69
	v_addc_co_u32_e32 v25, vcc, v27, v25, vcc
	v_lshlrev_b64 v[26:27], 3, v[36:37]
	v_mad_u64_u32 v[36:37], s[2:3], s20, v50, 0
	v_mov_b32_e32 v77, v72
	v_mov_b32_e32 v39, v49
	v_fmac_f32_e32 v77, 0x3f5db3d7, v32
	v_fmac_f32_e32 v39, 0xbf5db3d7, v33
	v_add_f32_e32 v38, v77, v66
	v_sub_f32_e32 v29, v39, v67
	v_fmac_f32_e32 v49, 0x3f5db3d7, v33
	v_fmac_f32_e32 v65, 0x3f5db3d7, v74
	v_sub_f32_e32 v28, v77, v66
	v_add_f32_e32 v39, v39, v67
	v_mad_u64_u32 v[66:67], s[2:3], s21, v50, v[37:38]
	v_add_u32_e32 v50, 0xa0, v69
	v_sub_f32_e32 v33, v49, v65
	v_sub_f32_e32 v35, v68, v71
	v_add_f32_e32 v49, v49, v65
	v_add_f32_e32 v65, v68, v71
	v_mad_u64_u32 v[67:68], s[2:3], s20, v50, 0
	v_add_co_u32_e32 v26, vcc, v24, v26
	v_addc_co_u32_e32 v27, vcc, v25, v27, vcc
	v_mov_b32_e32 v37, v66
	global_store_dwordx2 v[26:27], v[64:65], off
	v_lshlrev_b64 v[26:27], 3, v[36:37]
	v_mov_b32_e32 v36, v68
	v_mad_u64_u32 v[36:37], s[2:3], s21, v50, v[36:37]
	v_fmac_f32_e32 v72, 0xbf5db3d7, v32
	v_fmac_f32_e32 v48, 0.5, v74
	v_add_co_u32_e32 v26, vcc, v24, v26
	v_sub_f32_e32 v32, v72, v48
	v_add_f32_e32 v48, v72, v48
	v_addc_co_u32_e32 v27, vcc, v25, v27, vcc
	global_store_dwordx2 v[26:27], v[48:49], off
	v_add_u32_e32 v48, 0xf0, v69
	v_mov_b32_e32 v68, v36
	v_mad_u64_u32 v[36:37], s[2:3], s20, v48, 0
	v_add_u32_e32 v59, 0x140, v69
	v_lshlrev_b64 v[26:27], 3, v[67:68]
	v_mad_u64_u32 v[48:49], s[2:3], s21, v48, v[37:38]
	v_mad_u64_u32 v[49:50], s[2:3], s20, v59, 0
	v_add_co_u32_e32 v26, vcc, v24, v26
	v_addc_co_u32_e32 v27, vcc, v25, v27, vcc
	v_mov_b32_e32 v37, v48
	global_store_dwordx2 v[26:27], v[38:39], off
	v_lshlrev_b64 v[26:27], 3, v[36:37]
	v_mov_b32_e32 v36, v50
	v_mad_u64_u32 v[36:37], s[2:3], s21, v59, v[36:37]
	v_add_co_u32_e32 v26, vcc, v24, v26
	v_mov_b32_e32 v50, v36
	v_add_u32_e32 v36, 16, v94
	v_mul_hi_u32 v37, v36, s0
	v_addc_co_u32_e32 v27, vcc, v25, v27, vcc
	v_add_u32_e32 v38, 0x190, v69
	v_lshrrev_b32_e32 v37, 6, v37
	v_mul_lo_u32 v39, v37, s1
	global_store_dwordx2 v[26:27], v[34:35], off
	v_mad_u64_u32 v[34:35], s[2:3], s20, v38, 0
	v_sub_u32_e32 v36, v36, v39
	s_movk_i32 s2, 0x1e0
	v_mad_u64_u32 v[36:37], s[4:5], v37, s2, v[36:37]
	v_lshlrev_b64 v[26:27], 3, v[49:50]
	v_add_f32_e32 v57, v90, v91
	v_mad_u64_u32 v[37:38], s[4:5], s21, v38, v[35:36]
	v_mad_u64_u32 v[38:39], s[4:5], s20, v36, 0
	v_add_co_u32_e32 v26, vcc, v24, v26
	v_addc_co_u32_e32 v27, vcc, v25, v27, vcc
	global_store_dwordx2 v[26:27], v[32:33], off
	v_mov_b32_e32 v32, v39
	v_mov_b32_e32 v35, v37
	v_mad_u64_u32 v[32:33], s[4:5], s21, v36, v[32:33]
	v_lshlrev_b64 v[26:27], 3, v[34:35]
	v_add_u32_e32 v35, 0xa0, v36
	v_add_co_u32_e32 v26, vcc, v24, v26
	v_addc_co_u32_e32 v27, vcc, v25, v27, vcc
	v_mov_b32_e32 v39, v32
	v_add_u32_e32 v32, 0x50, v36
	global_store_dwordx2 v[26:27], v[28:29], off
	v_mad_u64_u32 v[28:29], s[4:5], s20, v32, 0
	v_lshlrev_b64 v[26:27], 3, v[38:39]
	v_sub_f32_e32 v51, v90, v91
	v_mad_u64_u32 v[32:33], s[4:5], s21, v32, v[29:30]
	v_mad_u64_u32 v[33:34], s[4:5], s20, v35, 0
	v_add_co_u32_e32 v26, vcc, v24, v26
	v_addc_co_u32_e32 v27, vcc, v25, v27, vcc
	v_mov_b32_e32 v29, v32
	global_store_dwordx2 v[26:27], v[75:76], off
	v_lshlrev_b64 v[26:27], 3, v[28:29]
	v_mov_b32_e32 v28, v34
	v_mad_u64_u32 v[28:29], s[4:5], s21, v35, v[28:29]
	v_add_u32_e32 v32, 0xf0, v36
	v_add_co_u32_e32 v26, vcc, v24, v26
	v_mov_b32_e32 v34, v28
	v_mad_u64_u32 v[28:29], s[4:5], s20, v32, 0
	v_addc_co_u32_e32 v27, vcc, v25, v27, vcc
	global_store_dwordx2 v[26:27], v[62:63], off
	v_lshlrev_b64 v[26:27], 3, v[33:34]
	v_mad_u64_u32 v[32:33], s[4:5], s21, v32, v[29:30]
	v_add_u32_e32 v35, 0x140, v36
	v_mad_u64_u32 v[33:34], s[4:5], s20, v35, 0
	v_add_co_u32_e32 v26, vcc, v24, v26
	v_addc_co_u32_e32 v27, vcc, v25, v27, vcc
	v_mov_b32_e32 v29, v32
	global_store_dwordx2 v[26:27], v[60:61], off
	v_lshlrev_b64 v[26:27], 3, v[28:29]
	v_mov_b32_e32 v28, v34
	v_mad_u64_u32 v[28:29], s[4:5], s21, v35, v[28:29]
	v_add_co_u32_e32 v26, vcc, v24, v26
	v_addc_co_u32_e32 v27, vcc, v25, v27, vcc
	v_mov_b32_e32 v34, v28
	v_add_u32_e32 v32, 32, v94
	global_store_dwordx2 v[26:27], v[44:45], off
	v_lshlrev_b64 v[26:27], 3, v[33:34]
	v_mul_hi_u32 v33, v32, s0
	v_add_u32_e32 v34, 0x190, v36
	v_mad_u64_u32 v[28:29], s[4:5], s20, v34, 0
	v_lshrrev_b32_e32 v33, 6, v33
	v_mul_lo_u32 v35, v33, s1
	v_add_co_u32_e32 v26, vcc, v24, v26
	v_addc_co_u32_e32 v27, vcc, v25, v27, vcc
	v_sub_u32_e32 v32, v32, v35
	v_mad_u64_u32 v[32:33], s[4:5], v33, s2, v[32:33]
	v_mad_u64_u32 v[33:34], s[4:5], s21, v34, v[29:30]
	;; [unrolled: 1-line block ×3, first 2 shown]
	v_mov_b32_e32 v29, v33
	global_store_dwordx2 v[26:27], v[42:43], off
	v_lshlrev_b64 v[26:27], 3, v[28:29]
	v_mov_b32_e32 v28, v35
	v_mad_u64_u32 v[28:29], s[4:5], s21, v32, v[28:29]
	v_add_u32_e32 v33, 0x50, v32
	v_add_co_u32_e32 v26, vcc, v24, v26
	v_mov_b32_e32 v35, v28
	v_mad_u64_u32 v[28:29], s[4:5], s20, v33, 0
	v_addc_co_u32_e32 v27, vcc, v25, v27, vcc
	global_store_dwordx2 v[26:27], v[40:41], off
	v_lshlrev_b64 v[26:27], 3, v[34:35]
	v_mad_u64_u32 v[33:34], s[4:5], s21, v33, v[29:30]
	v_add_u32_e32 v36, 0xa0, v32
	v_mad_u64_u32 v[34:35], s[4:5], s20, v36, 0
	v_add_co_u32_e32 v26, vcc, v24, v26
	v_addc_co_u32_e32 v27, vcc, v25, v27, vcc
	v_mov_b32_e32 v29, v33
	global_store_dwordx2 v[26:27], v[57:58], off
	v_lshlrev_b64 v[26:27], 3, v[28:29]
	v_mov_b32_e32 v28, v35
	v_mad_u64_u32 v[28:29], s[4:5], s21, v36, v[28:29]
	v_add_u32_e32 v33, 0xf0, v32
	v_add_co_u32_e32 v26, vcc, v24, v26
	v_mov_b32_e32 v35, v28
	v_mad_u64_u32 v[28:29], s[4:5], s20, v33, 0
	v_addc_co_u32_e32 v27, vcc, v25, v27, vcc
	global_store_dwordx2 v[26:27], v[55:56], off
	v_lshlrev_b64 v[26:27], 3, v[34:35]
	v_mad_u64_u32 v[33:34], s[4:5], s21, v33, v[29:30]
	v_add_u32_e32 v36, 0x140, v32
	v_mad_u64_u32 v[34:35], s[4:5], s20, v36, 0
	v_add_co_u32_e32 v26, vcc, v24, v26
	v_addc_co_u32_e32 v27, vcc, v25, v27, vcc
	v_mov_b32_e32 v29, v33
	global_store_dwordx2 v[26:27], v[53:54], off
	v_lshlrev_b64 v[26:27], 3, v[28:29]
	v_mov_b32_e32 v28, v35
	v_mad_u64_u32 v[28:29], s[4:5], s21, v36, v[28:29]
	v_add_co_u32_e32 v26, vcc, v24, v26
	v_addc_co_u32_e32 v27, vcc, v25, v27, vcc
	v_mov_b32_e32 v35, v28
	v_add_u32_e32 v33, 48, v94
	global_store_dwordx2 v[26:27], v[51:52], off
	v_lshlrev_b64 v[26:27], 3, v[34:35]
	v_mul_hi_u32 v34, v33, s0
	v_add_u32_e32 v35, 0x190, v32
	v_mad_u64_u32 v[28:29], s[4:5], s20, v35, 0
	v_lshrrev_b32_e32 v34, 6, v34
	v_mul_lo_u32 v32, v34, s1
	v_add_co_u32_e32 v26, vcc, v24, v26
	v_addc_co_u32_e32 v27, vcc, v25, v27, vcc
	v_sub_u32_e32 v32, v33, v32
	v_mad_u64_u32 v[32:33], s[4:5], v34, s2, v[32:33]
	v_mad_u64_u32 v[33:34], s[4:5], s21, v35, v[29:30]
	v_mad_u64_u32 v[34:35], s[4:5], s20, v32, 0
	v_mov_b32_e32 v29, v33
	global_store_dwordx2 v[26:27], v[46:47], off
	v_lshlrev_b64 v[26:27], 3, v[28:29]
	v_mov_b32_e32 v28, v35
	v_mad_u64_u32 v[28:29], s[4:5], s21, v32, v[28:29]
	v_add_co_u32_e32 v26, vcc, v24, v26
	v_addc_co_u32_e32 v27, vcc, v25, v27, vcc
	global_store_dwordx2 v[26:27], v[30:31], off
	v_add_u32_e32 v30, 0x50, v32
	v_mov_b32_e32 v35, v28
	v_mad_u64_u32 v[28:29], s[4:5], s20, v30, 0
	v_add_u32_e32 v33, 0xa0, v32
	v_lshlrev_b64 v[26:27], 3, v[34:35]
	v_mad_u64_u32 v[29:30], s[4:5], s21, v30, v[29:30]
	v_mad_u64_u32 v[30:31], s[4:5], s20, v33, 0
	v_add_co_u32_e32 v26, vcc, v24, v26
	v_addc_co_u32_e32 v27, vcc, v25, v27, vcc
	global_store_dwordx2 v[26:27], v[22:23], off
	v_mov_b32_e32 v26, v31
	v_mad_u64_u32 v[26:27], s[4:5], s21, v33, v[26:27]
	v_lshlrev_b64 v[22:23], 3, v[28:29]
	v_add_u32_e32 v29, 0x140, v32
	v_add_co_u32_e32 v22, vcc, v24, v22
	v_addc_co_u32_e32 v23, vcc, v25, v23, vcc
	v_mov_b32_e32 v31, v26
	v_add_u32_e32 v26, 0xf0, v32
	global_store_dwordx2 v[22:23], v[20:21], off
	v_mad_u64_u32 v[22:23], s[4:5], s20, v26, 0
	v_lshlrev_b64 v[20:21], 3, v[30:31]
	v_mad_u64_u32 v[26:27], s[4:5], s21, v26, v[23:24]
	v_mad_u64_u32 v[27:28], s[4:5], s20, v29, 0
	v_add_co_u32_e32 v20, vcc, v24, v20
	v_addc_co_u32_e32 v21, vcc, v25, v21, vcc
	global_store_dwordx2 v[20:21], v[18:19], off
	v_mov_b32_e32 v20, v28
	v_mov_b32_e32 v23, v26
	v_mad_u64_u32 v[20:21], s[4:5], s21, v29, v[20:21]
	v_lshlrev_b64 v[18:19], 3, v[22:23]
	v_add_u32_e32 v21, 64, v94
	v_add_co_u32_e32 v18, vcc, v24, v18
	v_addc_co_u32_e32 v19, vcc, v25, v19, vcc
	v_mov_b32_e32 v28, v20
	global_store_dwordx2 v[18:19], v[16:17], off
	v_lshlrev_b64 v[16:17], 3, v[27:28]
	v_mul_hi_u32 v22, v21, s0
	v_add_co_u32_e32 v16, vcc, v24, v16
	v_add_u32_e32 v20, 0x190, v32
	v_addc_co_u32_e32 v17, vcc, v25, v17, vcc
	v_mad_u64_u32 v[18:19], s[4:5], s20, v20, 0
	global_store_dwordx2 v[16:17], v[14:15], off
	v_lshrrev_b32_e32 v16, 6, v22
	v_mul_lo_u32 v17, v16, s1
	v_mov_b32_e32 v14, v19
	v_mad_u64_u32 v[14:15], s[0:1], s21, v20, v[14:15]
	v_sub_u32_e32 v15, v21, v17
	v_mad_u64_u32 v[15:16], s[0:1], v16, s2, v[15:16]
	v_mov_b32_e32 v19, v14
	v_lshlrev_b64 v[16:17], 3, v[18:19]
	v_mad_u64_u32 v[18:19], s[0:1], s20, v15, 0
	v_add_u32_e32 v22, 0x50, v15
	v_add_co_u32_e32 v16, vcc, v24, v16
	v_mov_b32_e32 v14, v19
	v_mad_u64_u32 v[19:20], s[0:1], s21, v15, v[14:15]
	v_mad_u64_u32 v[20:21], s[0:1], s20, v22, 0
	v_addc_co_u32_e32 v17, vcc, v25, v17, vcc
	global_store_dwordx2 v[16:17], v[12:13], off
	v_lshlrev_b64 v[12:13], 3, v[18:19]
	v_mov_b32_e32 v14, v21
	v_add_co_u32_e32 v12, vcc, v24, v12
	v_mad_u64_u32 v[16:17], s[0:1], s21, v22, v[14:15]
	v_addc_co_u32_e32 v13, vcc, v25, v13, vcc
	v_add_u32_e32 v14, 0xa0, v15
	global_store_dwordx2 v[12:13], v[10:11], off
	v_mad_u64_u32 v[12:13], s[0:1], s20, v14, 0
	v_mov_b32_e32 v21, v16
	v_lshlrev_b64 v[10:11], 3, v[20:21]
	v_mad_u64_u32 v[13:14], s[0:1], s21, v14, v[13:14]
	v_add_u32_e32 v14, 0xf0, v15
	v_mad_u64_u32 v[16:17], s[0:1], s20, v14, 0
	v_add_co_u32_e32 v10, vcc, v24, v10
	v_addc_co_u32_e32 v11, vcc, v25, v11, vcc
	global_store_dwordx2 v[10:11], v[8:9], off
	v_mov_b32_e32 v10, v17
	v_mad_u64_u32 v[10:11], s[0:1], s21, v14, v[10:11]
	v_lshlrev_b64 v[8:9], 3, v[12:13]
	v_add_u32_e32 v12, 0x190, v15
	v_add_co_u32_e32 v8, vcc, v24, v8
	v_addc_co_u32_e32 v9, vcc, v25, v9, vcc
	v_mov_b32_e32 v17, v10
	v_add_u32_e32 v10, 0x140, v15
	global_store_dwordx2 v[8:9], v[6:7], off
	v_mad_u64_u32 v[8:9], s[0:1], s20, v10, 0
	v_lshlrev_b64 v[6:7], 3, v[16:17]
	v_mad_u64_u32 v[9:10], s[0:1], s21, v10, v[9:10]
	v_mad_u64_u32 v[10:11], s[0:1], s20, v12, 0
	v_add_co_u32_e32 v6, vcc, v24, v6
	v_addc_co_u32_e32 v7, vcc, v25, v7, vcc
	global_store_dwordx2 v[6:7], v[2:3], off
	v_mov_b32_e32 v6, v11
	v_mad_u64_u32 v[6:7], s[0:1], s21, v12, v[6:7]
	v_lshlrev_b64 v[2:3], 3, v[8:9]
	v_add_co_u32_e32 v2, vcc, v24, v2
	v_addc_co_u32_e32 v3, vcc, v25, v3, vcc
	v_mov_b32_e32 v11, v6
	global_store_dwordx2 v[2:3], v[4:5], off
	v_lshlrev_b64 v[2:3], 3, v[10:11]
	v_add_co_u32_e32 v2, vcc, v24, v2
	v_addc_co_u32_e32 v3, vcc, v25, v3, vcc
	global_store_dwordx2 v[2:3], v[0:1], off
.LBB0_23:
	s_endpgm
	.section	.rodata,"a",@progbits
	.p2align	6, 0x0
	.amdhsa_kernel fft_rtc_back_len480_factors_10_8_6_wgs_64_tpt_16_halfLds_sp_op_CI_CI_sbrr_dirReg
		.amdhsa_group_segment_fixed_size 0
		.amdhsa_private_segment_fixed_size 0
		.amdhsa_kernarg_size 104
		.amdhsa_user_sgpr_count 6
		.amdhsa_user_sgpr_private_segment_buffer 1
		.amdhsa_user_sgpr_dispatch_ptr 0
		.amdhsa_user_sgpr_queue_ptr 0
		.amdhsa_user_sgpr_kernarg_segment_ptr 1
		.amdhsa_user_sgpr_dispatch_id 0
		.amdhsa_user_sgpr_flat_scratch_init 0
		.amdhsa_user_sgpr_private_segment_size 0
		.amdhsa_uses_dynamic_stack 0
		.amdhsa_system_sgpr_private_segment_wavefront_offset 0
		.amdhsa_system_sgpr_workgroup_id_x 1
		.amdhsa_system_sgpr_workgroup_id_y 0
		.amdhsa_system_sgpr_workgroup_id_z 0
		.amdhsa_system_sgpr_workgroup_info 0
		.amdhsa_system_vgpr_workitem_id 0
		.amdhsa_next_free_vgpr 124
		.amdhsa_next_free_sgpr 32
		.amdhsa_reserve_vcc 1
		.amdhsa_reserve_flat_scratch 0
		.amdhsa_float_round_mode_32 0
		.amdhsa_float_round_mode_16_64 0
		.amdhsa_float_denorm_mode_32 3
		.amdhsa_float_denorm_mode_16_64 3
		.amdhsa_dx10_clamp 1
		.amdhsa_ieee_mode 1
		.amdhsa_fp16_overflow 0
		.amdhsa_exception_fp_ieee_invalid_op 0
		.amdhsa_exception_fp_denorm_src 0
		.amdhsa_exception_fp_ieee_div_zero 0
		.amdhsa_exception_fp_ieee_overflow 0
		.amdhsa_exception_fp_ieee_underflow 0
		.amdhsa_exception_fp_ieee_inexact 0
		.amdhsa_exception_int_div_zero 0
	.end_amdhsa_kernel
	.text
.Lfunc_end0:
	.size	fft_rtc_back_len480_factors_10_8_6_wgs_64_tpt_16_halfLds_sp_op_CI_CI_sbrr_dirReg, .Lfunc_end0-fft_rtc_back_len480_factors_10_8_6_wgs_64_tpt_16_halfLds_sp_op_CI_CI_sbrr_dirReg
                                        ; -- End function
	.section	.AMDGPU.csdata,"",@progbits
; Kernel info:
; codeLenInByte = 13596
; NumSgprs: 36
; NumVgprs: 124
; ScratchSize: 0
; MemoryBound: 0
; FloatMode: 240
; IeeeMode: 1
; LDSByteSize: 0 bytes/workgroup (compile time only)
; SGPRBlocks: 4
; VGPRBlocks: 30
; NumSGPRsForWavesPerEU: 36
; NumVGPRsForWavesPerEU: 124
; Occupancy: 2
; WaveLimiterHint : 1
; COMPUTE_PGM_RSRC2:SCRATCH_EN: 0
; COMPUTE_PGM_RSRC2:USER_SGPR: 6
; COMPUTE_PGM_RSRC2:TRAP_HANDLER: 0
; COMPUTE_PGM_RSRC2:TGID_X_EN: 1
; COMPUTE_PGM_RSRC2:TGID_Y_EN: 0
; COMPUTE_PGM_RSRC2:TGID_Z_EN: 0
; COMPUTE_PGM_RSRC2:TIDIG_COMP_CNT: 0
	.type	__hip_cuid_1fb88d91c1aa1448,@object ; @__hip_cuid_1fb88d91c1aa1448
	.section	.bss,"aw",@nobits
	.globl	__hip_cuid_1fb88d91c1aa1448
__hip_cuid_1fb88d91c1aa1448:
	.byte	0                               ; 0x0
	.size	__hip_cuid_1fb88d91c1aa1448, 1

	.ident	"AMD clang version 19.0.0git (https://github.com/RadeonOpenCompute/llvm-project roc-6.4.0 25133 c7fe45cf4b819c5991fe208aaa96edf142730f1d)"
	.section	".note.GNU-stack","",@progbits
	.addrsig
	.addrsig_sym __hip_cuid_1fb88d91c1aa1448
	.amdgpu_metadata
---
amdhsa.kernels:
  - .args:
      - .actual_access:  read_only
        .address_space:  global
        .offset:         0
        .size:           8
        .value_kind:     global_buffer
      - .offset:         8
        .size:           8
        .value_kind:     by_value
      - .actual_access:  read_only
        .address_space:  global
        .offset:         16
        .size:           8
        .value_kind:     global_buffer
      - .actual_access:  read_only
        .address_space:  global
        .offset:         24
        .size:           8
        .value_kind:     global_buffer
      - .actual_access:  read_only
        .address_space:  global
        .offset:         32
        .size:           8
        .value_kind:     global_buffer
      - .offset:         40
        .size:           8
        .value_kind:     by_value
      - .actual_access:  read_only
        .address_space:  global
        .offset:         48
        .size:           8
        .value_kind:     global_buffer
      - .actual_access:  read_only
        .address_space:  global
        .offset:         56
        .size:           8
        .value_kind:     global_buffer
      - .offset:         64
        .size:           4
        .value_kind:     by_value
      - .actual_access:  read_only
        .address_space:  global
        .offset:         72
        .size:           8
        .value_kind:     global_buffer
      - .actual_access:  read_only
        .address_space:  global
        .offset:         80
        .size:           8
        .value_kind:     global_buffer
      - .actual_access:  read_only
        .address_space:  global
        .offset:         88
        .size:           8
        .value_kind:     global_buffer
      - .actual_access:  write_only
        .address_space:  global
        .offset:         96
        .size:           8
        .value_kind:     global_buffer
    .group_segment_fixed_size: 0
    .kernarg_segment_align: 8
    .kernarg_segment_size: 104
    .language:       OpenCL C
    .language_version:
      - 2
      - 0
    .max_flat_workgroup_size: 64
    .name:           fft_rtc_back_len480_factors_10_8_6_wgs_64_tpt_16_halfLds_sp_op_CI_CI_sbrr_dirReg
    .private_segment_fixed_size: 0
    .sgpr_count:     36
    .sgpr_spill_count: 0
    .symbol:         fft_rtc_back_len480_factors_10_8_6_wgs_64_tpt_16_halfLds_sp_op_CI_CI_sbrr_dirReg.kd
    .uniform_work_group_size: 1
    .uses_dynamic_stack: false
    .vgpr_count:     124
    .vgpr_spill_count: 0
    .wavefront_size: 64
amdhsa.target:   amdgcn-amd-amdhsa--gfx906
amdhsa.version:
  - 1
  - 2
...

	.end_amdgpu_metadata
